;; amdgpu-corpus repo=ROCm/rocFFT kind=compiled arch=gfx906 opt=O3
	.text
	.amdgcn_target "amdgcn-amd-amdhsa--gfx906"
	.amdhsa_code_object_version 6
	.protected	fft_rtc_back_len357_factors_17_3_7_wgs_187_tpt_17_halfLds_sp_op_CI_CI_sbrr_dirReg ; -- Begin function fft_rtc_back_len357_factors_17_3_7_wgs_187_tpt_17_halfLds_sp_op_CI_CI_sbrr_dirReg
	.globl	fft_rtc_back_len357_factors_17_3_7_wgs_187_tpt_17_halfLds_sp_op_CI_CI_sbrr_dirReg
	.p2align	8
	.type	fft_rtc_back_len357_factors_17_3_7_wgs_187_tpt_17_halfLds_sp_op_CI_CI_sbrr_dirReg,@function
fft_rtc_back_len357_factors_17_3_7_wgs_187_tpt_17_halfLds_sp_op_CI_CI_sbrr_dirReg: ; @fft_rtc_back_len357_factors_17_3_7_wgs_187_tpt_17_halfLds_sp_op_CI_CI_sbrr_dirReg
; %bb.0:
	s_load_dwordx4 s[16:19], s[4:5], 0x18
	s_load_dwordx4 s[12:15], s[4:5], 0x0
	;; [unrolled: 1-line block ×3, first 2 shown]
	v_mul_u32_u24_e32 v1, 0xf10, v0
	v_lshrrev_b32_e32 v1, 16, v1
	v_mad_u64_u32 v[73:74], s[0:1], s6, 11, v[1:2]
	s_waitcnt lgkmcnt(0)
	s_load_dwordx2 s[20:21], s[16:17], 0x0
	s_load_dwordx2 s[2:3], s[18:19], 0x0
	v_mov_b32_e32 v5, 0
	v_cmp_lt_u64_e64 s[0:1], s[14:15], 2
	v_mov_b32_e32 v75, 0
	v_mov_b32_e32 v74, v5
	;; [unrolled: 1-line block ×5, first 2 shown]
	s_and_b64 vcc, exec, s[0:1]
	v_mov_b32_e32 v2, v76
	v_mov_b32_e32 v4, v74
	s_cbranch_vccnz .LBB0_8
; %bb.1:
	s_load_dwordx2 s[0:1], s[4:5], 0x10
	s_add_u32 s6, s18, 8
	s_addc_u32 s7, s19, 0
	s_add_u32 s22, s16, 8
	s_addc_u32 s23, s17, 0
	v_mov_b32_e32 v75, 0
	s_waitcnt lgkmcnt(0)
	s_add_u32 s24, s0, 8
	v_mov_b32_e32 v76, 0
	v_mov_b32_e32 v1, v75
	;; [unrolled: 1-line block ×3, first 2 shown]
	s_addc_u32 s25, s1, 0
	s_mov_b64 s[26:27], 1
	v_mov_b32_e32 v2, v76
	v_mov_b32_e32 v8, v74
.LBB0_2:                                ; =>This Inner Loop Header: Depth=1
	s_load_dwordx2 s[28:29], s[24:25], 0x0
                                        ; implicit-def: $vgpr3_vgpr4
	s_waitcnt lgkmcnt(0)
	v_or_b32_e32 v6, s29, v8
	v_cmp_ne_u64_e32 vcc, 0, v[5:6]
	s_and_saveexec_b64 s[0:1], vcc
	s_xor_b64 s[30:31], exec, s[0:1]
	s_cbranch_execz .LBB0_4
; %bb.3:                                ;   in Loop: Header=BB0_2 Depth=1
	v_cvt_f32_u32_e32 v3, s28
	v_cvt_f32_u32_e32 v4, s29
	s_sub_u32 s0, 0, s28
	s_subb_u32 s1, 0, s29
	v_mac_f32_e32 v3, 0x4f800000, v4
	v_rcp_f32_e32 v3, v3
	v_mul_f32_e32 v3, 0x5f7ffffc, v3
	v_mul_f32_e32 v4, 0x2f800000, v3
	v_trunc_f32_e32 v4, v4
	v_mac_f32_e32 v3, 0xcf800000, v4
	v_cvt_u32_f32_e32 v4, v4
	v_cvt_u32_f32_e32 v3, v3
	v_mul_lo_u32 v6, s0, v4
	v_mul_hi_u32 v9, s0, v3
	v_mul_lo_u32 v11, s1, v3
	v_mul_lo_u32 v10, s0, v3
	v_add_u32_e32 v6, v9, v6
	v_add_u32_e32 v6, v6, v11
	v_mul_hi_u32 v9, v3, v10
	v_mul_lo_u32 v11, v3, v6
	v_mul_hi_u32 v13, v3, v6
	v_mul_hi_u32 v12, v4, v10
	v_mul_lo_u32 v10, v4, v10
	v_mul_hi_u32 v14, v4, v6
	v_add_co_u32_e32 v9, vcc, v9, v11
	v_addc_co_u32_e32 v11, vcc, 0, v13, vcc
	v_mul_lo_u32 v6, v4, v6
	v_add_co_u32_e32 v9, vcc, v9, v10
	v_addc_co_u32_e32 v9, vcc, v11, v12, vcc
	v_addc_co_u32_e32 v10, vcc, 0, v14, vcc
	v_add_co_u32_e32 v6, vcc, v9, v6
	v_addc_co_u32_e32 v9, vcc, 0, v10, vcc
	v_add_co_u32_e32 v3, vcc, v3, v6
	v_addc_co_u32_e32 v4, vcc, v4, v9, vcc
	v_mul_lo_u32 v6, s0, v4
	v_mul_hi_u32 v9, s0, v3
	v_mul_lo_u32 v10, s1, v3
	v_mul_lo_u32 v11, s0, v3
	v_add_u32_e32 v6, v9, v6
	v_add_u32_e32 v6, v6, v10
	v_mul_lo_u32 v12, v3, v6
	v_mul_hi_u32 v13, v3, v11
	v_mul_hi_u32 v14, v3, v6
	;; [unrolled: 1-line block ×3, first 2 shown]
	v_mul_lo_u32 v11, v4, v11
	v_mul_hi_u32 v9, v4, v6
	v_add_co_u32_e32 v12, vcc, v13, v12
	v_addc_co_u32_e32 v13, vcc, 0, v14, vcc
	v_mul_lo_u32 v6, v4, v6
	v_add_co_u32_e32 v11, vcc, v12, v11
	v_addc_co_u32_e32 v10, vcc, v13, v10, vcc
	v_addc_co_u32_e32 v9, vcc, 0, v9, vcc
	v_add_co_u32_e32 v6, vcc, v10, v6
	v_addc_co_u32_e32 v9, vcc, 0, v9, vcc
	v_add_co_u32_e32 v6, vcc, v3, v6
	v_addc_co_u32_e32 v9, vcc, v4, v9, vcc
	v_mad_u64_u32 v[3:4], s[0:1], v7, v9, 0
	v_mul_hi_u32 v10, v7, v6
	v_add_co_u32_e32 v11, vcc, v10, v3
	v_addc_co_u32_e32 v12, vcc, 0, v4, vcc
	v_mad_u64_u32 v[3:4], s[0:1], v8, v6, 0
	v_mad_u64_u32 v[9:10], s[0:1], v8, v9, 0
	v_add_co_u32_e32 v3, vcc, v11, v3
	v_addc_co_u32_e32 v3, vcc, v12, v4, vcc
	v_addc_co_u32_e32 v4, vcc, 0, v10, vcc
	v_add_co_u32_e32 v6, vcc, v3, v9
	v_addc_co_u32_e32 v9, vcc, 0, v4, vcc
	v_mul_lo_u32 v10, s29, v6
	v_mul_lo_u32 v11, s28, v9
	v_mad_u64_u32 v[3:4], s[0:1], s28, v6, 0
	v_add3_u32 v4, v4, v11, v10
	v_sub_u32_e32 v10, v8, v4
	v_mov_b32_e32 v11, s29
	v_sub_co_u32_e32 v3, vcc, v7, v3
	v_subb_co_u32_e64 v10, s[0:1], v10, v11, vcc
	v_subrev_co_u32_e64 v11, s[0:1], s28, v3
	v_subbrev_co_u32_e64 v10, s[0:1], 0, v10, s[0:1]
	v_cmp_le_u32_e64 s[0:1], s29, v10
	v_cndmask_b32_e64 v12, 0, -1, s[0:1]
	v_cmp_le_u32_e64 s[0:1], s28, v11
	v_cndmask_b32_e64 v11, 0, -1, s[0:1]
	v_cmp_eq_u32_e64 s[0:1], s29, v10
	v_cndmask_b32_e64 v10, v12, v11, s[0:1]
	v_add_co_u32_e64 v11, s[0:1], 2, v6
	v_addc_co_u32_e64 v12, s[0:1], 0, v9, s[0:1]
	v_add_co_u32_e64 v13, s[0:1], 1, v6
	v_addc_co_u32_e64 v14, s[0:1], 0, v9, s[0:1]
	v_subb_co_u32_e32 v4, vcc, v8, v4, vcc
	v_cmp_ne_u32_e64 s[0:1], 0, v10
	v_cmp_le_u32_e32 vcc, s29, v4
	v_cndmask_b32_e64 v10, v14, v12, s[0:1]
	v_cndmask_b32_e64 v12, 0, -1, vcc
	v_cmp_le_u32_e32 vcc, s28, v3
	v_cndmask_b32_e64 v3, 0, -1, vcc
	v_cmp_eq_u32_e32 vcc, s29, v4
	v_cndmask_b32_e32 v3, v12, v3, vcc
	v_cmp_ne_u32_e32 vcc, 0, v3
	v_cndmask_b32_e64 v3, v13, v11, s[0:1]
	v_cndmask_b32_e32 v4, v9, v10, vcc
	v_cndmask_b32_e32 v3, v6, v3, vcc
.LBB0_4:                                ;   in Loop: Header=BB0_2 Depth=1
	s_andn2_saveexec_b64 s[0:1], s[30:31]
	s_cbranch_execz .LBB0_6
; %bb.5:                                ;   in Loop: Header=BB0_2 Depth=1
	v_cvt_f32_u32_e32 v3, s28
	s_sub_i32 s30, 0, s28
	v_rcp_iflag_f32_e32 v3, v3
	v_mul_f32_e32 v3, 0x4f7ffffe, v3
	v_cvt_u32_f32_e32 v3, v3
	v_mul_lo_u32 v4, s30, v3
	v_mul_hi_u32 v4, v3, v4
	v_add_u32_e32 v3, v3, v4
	v_mul_hi_u32 v3, v7, v3
	v_mul_lo_u32 v4, v3, s28
	v_add_u32_e32 v6, 1, v3
	v_sub_u32_e32 v4, v7, v4
	v_subrev_u32_e32 v9, s28, v4
	v_cmp_le_u32_e32 vcc, s28, v4
	v_cndmask_b32_e32 v4, v4, v9, vcc
	v_cndmask_b32_e32 v3, v3, v6, vcc
	v_add_u32_e32 v6, 1, v3
	v_cmp_le_u32_e32 vcc, s28, v4
	v_cndmask_b32_e32 v3, v3, v6, vcc
	v_mov_b32_e32 v4, v5
.LBB0_6:                                ;   in Loop: Header=BB0_2 Depth=1
	s_or_b64 exec, exec, s[0:1]
	v_mul_lo_u32 v6, v4, s28
	v_mul_lo_u32 v11, v3, s29
	v_mad_u64_u32 v[9:10], s[0:1], v3, s28, 0
	s_load_dwordx2 s[0:1], s[22:23], 0x0
	s_load_dwordx2 s[28:29], s[6:7], 0x0
	v_add3_u32 v6, v10, v11, v6
	v_sub_co_u32_e32 v7, vcc, v7, v9
	v_subb_co_u32_e32 v6, vcc, v8, v6, vcc
	s_waitcnt lgkmcnt(0)
	v_mul_lo_u32 v8, s0, v6
	v_mul_lo_u32 v9, s1, v7
	v_mad_u64_u32 v[75:76], s[0:1], s0, v7, v[75:76]
	v_mul_lo_u32 v6, s28, v6
	v_mul_lo_u32 v10, s29, v7
	v_mad_u64_u32 v[1:2], s[0:1], s28, v7, v[1:2]
	s_add_u32 s26, s26, 1
	s_addc_u32 s27, s27, 0
	s_add_u32 s6, s6, 8
	v_add3_u32 v2, v10, v2, v6
	s_addc_u32 s7, s7, 0
	v_mov_b32_e32 v6, s14
	s_add_u32 s22, s22, 8
	v_mov_b32_e32 v7, s15
	s_addc_u32 s23, s23, 0
	v_cmp_ge_u64_e32 vcc, s[26:27], v[6:7]
	s_add_u32 s24, s24, 8
	v_add3_u32 v76, v9, v76, v8
	s_addc_u32 s25, s25, 0
	s_cbranch_vccnz .LBB0_8
; %bb.7:                                ;   in Loop: Header=BB0_2 Depth=1
	v_mov_b32_e32 v8, v4
	v_mov_b32_e32 v7, v3
	s_branch .LBB0_2
.LBB0_8:
	s_load_dwordx2 s[0:1], s[4:5], 0x28
	s_lshl_b64 s[14:15], s[14:15], 3
	s_add_u32 s4, s18, s14
	s_addc_u32 s5, s19, s15
                                        ; implicit-def: $sgpr18
                                        ; implicit-def: $vgpr74
	s_waitcnt lgkmcnt(0)
	v_cmp_gt_u64_e32 vcc, s[0:1], v[3:4]
	v_cmp_le_u64_e64 s[0:1], s[0:1], v[3:4]
	s_and_saveexec_b64 s[6:7], s[0:1]
	s_xor_b64 s[0:1], exec, s[6:7]
; %bb.9:
	s_mov_b32 s6, 0xf0f0f10
	v_mul_hi_u32 v5, v0, s6
	s_mov_b32 s18, 0
                                        ; implicit-def: $vgpr75_vgpr76
	v_mul_u32_u24_e32 v5, 17, v5
	v_sub_u32_e32 v74, v0, v5
                                        ; implicit-def: $vgpr0
; %bb.10:
	s_or_saveexec_b64 s[6:7], s[0:1]
	s_load_dwordx2 s[4:5], s[4:5], 0x0
	v_mov_b32_e32 v14, s18
	v_mov_b32_e32 v13, s18
                                        ; implicit-def: $vgpr44
                                        ; implicit-def: $vgpr54
                                        ; implicit-def: $vgpr46
                                        ; implicit-def: $vgpr36
                                        ; implicit-def: $vgpr40
                                        ; implicit-def: $vgpr32
                                        ; implicit-def: $vgpr22
                                        ; implicit-def: $vgpr12
                                        ; implicit-def: $vgpr18
                                        ; implicit-def: $vgpr26
                                        ; implicit-def: $vgpr48
                                        ; implicit-def: $vgpr66
                                        ; implicit-def: $vgpr70
                                        ; implicit-def: $vgpr72
                                        ; implicit-def: $vgpr50
                                        ; implicit-def: $vgpr38
                                        ; implicit-def: $vgpr28
                                        ; implicit-def: $vgpr34
                                        ; implicit-def: $vgpr24
                                        ; implicit-def: $vgpr16
                                        ; implicit-def: $vgpr8
                                        ; implicit-def: $vgpr10
                                        ; implicit-def: $vgpr68
                                        ; implicit-def: $vgpr64
                                        ; implicit-def: $vgpr60
                                        ; implicit-def: $vgpr56
                                        ; implicit-def: $vgpr52
                                        ; implicit-def: $vgpr30
                                        ; implicit-def: $vgpr20
                                        ; implicit-def: $vgpr6
                                        ; implicit-def: $vgpr62
                                        ; implicit-def: $vgpr58
                                        ; implicit-def: $vgpr42
	s_xor_b64 exec, exec, s[6:7]
	s_cbranch_execz .LBB0_14
; %bb.11:
	s_add_u32 s0, s16, s14
	s_mov_b32 s14, 0xf0f0f10
	v_mul_hi_u32 v5, v0, s14
	s_addc_u32 s1, s17, s15
	s_load_dwordx2 s[0:1], s[0:1], 0x0
                                        ; implicit-def: $vgpr29
                                        ; implicit-def: $vgpr51
                                        ; implicit-def: $vgpr55
                                        ; implicit-def: $vgpr59
                                        ; implicit-def: $vgpr63
                                        ; implicit-def: $vgpr67
                                        ; implicit-def: $vgpr33
                                        ; implicit-def: $vgpr27
                                        ; implicit-def: $vgpr37
                                        ; implicit-def: $vgpr49
	v_mul_u32_u24_e32 v5, 17, v5
	v_sub_u32_e32 v74, v0, v5
	v_mad_u64_u32 v[5:6], s[14:15], s20, v74, 0
	s_waitcnt lgkmcnt(0)
	v_mul_lo_u32 v11, s1, v3
	v_mul_lo_u32 v12, s0, v4
	v_mad_u64_u32 v[7:8], s[0:1], s0, v3, 0
	v_mov_b32_e32 v0, v6
	v_mad_u64_u32 v[9:10], s[0:1], s21, v74, v[0:1]
	v_add3_u32 v8, v8, v12, v11
	v_lshlrev_b64 v[7:8], 3, v[7:8]
	v_mov_b32_e32 v0, s9
	v_add_co_u32_e64 v11, s[0:1], s8, v7
	v_add_u32_e32 v13, 21, v74
	v_mov_b32_e32 v6, v9
	v_addc_co_u32_e64 v12, s[0:1], v0, v8, s[0:1]
	v_mad_u64_u32 v[9:10], s[0:1], s20, v13, 0
	v_lshlrev_b64 v[7:8], 3, v[75:76]
	v_lshlrev_b64 v[5:6], 3, v[5:6]
	v_add_co_u32_e64 v0, s[0:1], v11, v7
	v_mov_b32_e32 v7, v10
	v_addc_co_u32_e64 v68, s[0:1], v12, v8, s[0:1]
	v_mad_u64_u32 v[7:8], s[0:1], s21, v13, v[7:8]
	v_add_u32_e32 v13, 42, v74
	v_mad_u64_u32 v[11:12], s[0:1], s20, v13, 0
	v_mov_b32_e32 v10, v7
	v_add_co_u32_e64 v5, s[0:1], v0, v5
	v_lshlrev_b64 v[7:8], 3, v[9:10]
	v_mov_b32_e32 v9, v12
	v_addc_co_u32_e64 v6, s[0:1], v68, v6, s[0:1]
	v_mad_u64_u32 v[9:10], s[0:1], s21, v13, v[9:10]
	v_add_u32_e32 v15, 63, v74
	v_mad_u64_u32 v[13:14], s[0:1], s20, v15, 0
	v_mov_b32_e32 v12, v9
	v_add_co_u32_e64 v7, s[0:1], v0, v7
	v_lshlrev_b64 v[9:10], 3, v[11:12]
	v_mov_b32_e32 v11, v14
	v_addc_co_u32_e64 v8, s[0:1], v68, v8, s[0:1]
	v_mad_u64_u32 v[11:12], s[0:1], s21, v15, v[11:12]
	v_add_co_u32_e64 v9, s[0:1], v0, v9
	v_mov_b32_e32 v14, v11
	v_add_u32_e32 v15, 0x54, v74
	v_addc_co_u32_e64 v10, s[0:1], v68, v10, s[0:1]
	v_lshlrev_b64 v[11:12], 3, v[13:14]
	v_mad_u64_u32 v[13:14], s[0:1], s20, v15, 0
	v_add_co_u32_e64 v11, s[0:1], v0, v11
	v_addc_co_u32_e64 v12, s[0:1], v68, v12, s[0:1]
	v_mad_u64_u32 v[14:15], s[0:1], s21, v15, v[14:15]
	v_add_u32_e32 v17, 0x69, v74
	v_mad_u64_u32 v[15:16], s[0:1], s20, v17, 0
	global_load_dwordx2 v[43:44], v[5:6], off
	global_load_dwordx2 v[53:54], v[7:8], off
	;; [unrolled: 1-line block ×4, first 2 shown]
	v_add_u32_e32 v12, 0x7e, v74
	v_mov_b32_e32 v7, v16
	v_mad_u64_u32 v[7:8], s[0:1], s21, v17, v[7:8]
	v_mad_u64_u32 v[8:9], s[0:1], s20, v12, 0
	v_lshlrev_b64 v[5:6], 3, v[13:14]
	v_mov_b32_e32 v16, v7
	v_add_co_u32_e64 v5, s[0:1], v0, v5
	v_mov_b32_e32 v7, v9
	v_addc_co_u32_e64 v6, s[0:1], v68, v6, s[0:1]
	v_mad_u64_u32 v[12:13], s[0:1], s21, v12, v[7:8]
	v_add_u32_e32 v17, 0x93, v74
	v_mad_u64_u32 v[13:14], s[0:1], s20, v17, 0
	v_lshlrev_b64 v[10:11], 3, v[15:16]
	v_mov_b32_e32 v9, v12
	v_add_co_u32_e64 v15, s[0:1], v0, v10
	v_lshlrev_b64 v[7:8], 3, v[8:9]
	v_mov_b32_e32 v9, v14
	v_addc_co_u32_e64 v16, s[0:1], v68, v11, s[0:1]
	v_mad_u64_u32 v[9:10], s[0:1], s21, v17, v[9:10]
	v_add_co_u32_e64 v7, s[0:1], v0, v7
	v_mov_b32_e32 v14, v9
	v_add_u32_e32 v12, 0xa8, v74
	v_addc_co_u32_e64 v8, s[0:1], v68, v8, s[0:1]
	v_lshlrev_b64 v[9:10], 3, v[13:14]
	v_mad_u64_u32 v[13:14], s[0:1], s20, v12, 0
	v_add_co_u32_e64 v9, s[0:1], v0, v9
	v_mov_b32_e32 v11, v14
	v_addc_co_u32_e64 v10, s[0:1], v68, v10, s[0:1]
	v_mad_u64_u32 v[17:18], s[0:1], s21, v12, v[11:12]
	v_add_u32_e32 v20, 0xbd, v74
	v_mad_u64_u32 v[18:19], s[0:1], s20, v20, 0
	global_load_dwordx2 v[39:40], v[5:6], off
	global_load_dwordx2 v[31:32], v[15:16], off
	;; [unrolled: 1-line block ×4, first 2 shown]
	v_add_u32_e32 v10, 0xd2, v74
	v_mov_b32_e32 v7, v19
	v_mad_u64_u32 v[7:8], s[0:1], s21, v20, v[7:8]
	v_mad_u64_u32 v[8:9], s[0:1], s20, v10, 0
	v_mov_b32_e32 v14, v17
	v_lshlrev_b64 v[5:6], 3, v[13:14]
	v_mov_b32_e32 v19, v7
	v_add_co_u32_e64 v5, s[0:1], v0, v5
	v_mov_b32_e32 v7, v9
	v_addc_co_u32_e64 v6, s[0:1], v68, v6, s[0:1]
	v_mad_u64_u32 v[9:10], s[0:1], s21, v10, v[7:8]
	v_add_u32_e32 v10, 0xe7, v74
	v_mad_u64_u32 v[15:16], s[0:1], s20, v10, 0
	v_lshlrev_b64 v[13:14], 3, v[18:19]
	v_lshlrev_b64 v[7:8], 3, v[8:9]
	v_add_co_u32_e64 v13, s[0:1], v0, v13
	v_mov_b32_e32 v9, v16
	v_addc_co_u32_e64 v14, s[0:1], v68, v14, s[0:1]
	v_mad_u64_u32 v[9:10], s[0:1], s21, v10, v[9:10]
	v_add_co_u32_e64 v7, s[0:1], v0, v7
	v_mov_b32_e32 v16, v9
	v_add_u32_e32 v17, 0xfc, v74
	v_addc_co_u32_e64 v8, s[0:1], v68, v8, s[0:1]
	v_lshlrev_b64 v[9:10], 3, v[15:16]
	v_mad_u64_u32 v[15:16], s[0:1], s20, v17, 0
	v_add_co_u32_e64 v9, s[0:1], v0, v9
	v_addc_co_u32_e64 v10, s[0:1], v68, v10, s[0:1]
	v_mad_u64_u32 v[16:17], s[0:1], s21, v17, v[16:17]
	global_load_dwordx2 v[17:18], v[5:6], off
	global_load_dwordx2 v[25:26], v[13:14], off
	;; [unrolled: 1-line block ×4, first 2 shown]
	v_add_u32_e32 v23, 0x111, v74
	v_mad_u64_u32 v[19:20], s[0:1], s20, v23, 0
	v_add_u32_e32 v10, 0x126, v74
	v_lshlrev_b64 v[5:6], 3, v[15:16]
	v_mov_b32_e32 v7, v20
	v_mad_u64_u32 v[7:8], s[0:1], s21, v23, v[7:8]
	v_mad_u64_u32 v[8:9], s[0:1], s20, v10, 0
	v_add_co_u32_e64 v5, s[0:1], v0, v5
	v_mov_b32_e32 v20, v7
	v_mov_b32_e32 v7, v9
	v_addc_co_u32_e64 v6, s[0:1], v68, v6, s[0:1]
	v_mad_u64_u32 v[9:10], s[0:1], s21, v10, v[7:8]
	v_add_u32_e32 v10, 0x13b, v74
	v_mad_u64_u32 v[15:16], s[0:1], s20, v10, 0
	v_lshlrev_b64 v[13:14], 3, v[19:20]
	v_lshlrev_b64 v[7:8], 3, v[8:9]
	v_add_co_u32_e64 v13, s[0:1], v0, v13
	v_mov_b32_e32 v9, v16
	v_addc_co_u32_e64 v14, s[0:1], v68, v14, s[0:1]
	v_mad_u64_u32 v[9:10], s[0:1], s21, v10, v[9:10]
	v_add_co_u32_e64 v7, s[0:1], v0, v7
	v_mov_b32_e32 v16, v9
	v_add_u32_e32 v19, 0x150, v74
	v_addc_co_u32_e64 v8, s[0:1], v68, v8, s[0:1]
	v_lshlrev_b64 v[9:10], 3, v[15:16]
	v_mad_u64_u32 v[15:16], s[0:1], s20, v19, 0
	v_add_co_u32_e64 v9, s[0:1], v0, v9
	v_addc_co_u32_e64 v10, s[0:1], v68, v10, s[0:1]
	global_load_dwordx2 v[57:58], v[5:6], off
	global_load_dwordx2 v[61:62], v[13:14], off
	;; [unrolled: 1-line block ×4, first 2 shown]
	v_mov_b32_e32 v13, 0
	v_mov_b32_e32 v14, 0
                                        ; implicit-def: $vgpr9
                                        ; implicit-def: $vgpr7
                                        ; implicit-def: $vgpr23
	s_waitcnt vmcnt(7)
	v_mad_u64_u32 v[19:20], s[0:1], s21, v19, v[16:17]
	v_mov_b32_e32 v16, v19
	v_lshlrev_b64 v[5:6], 3, v[15:16]
                                        ; implicit-def: $vgpr19
                                        ; implicit-def: $vgpr15
	v_add_co_u32_e64 v5, s[0:1], v0, v5
	v_addc_co_u32_e64 v6, s[0:1], v68, v6, s[0:1]
	global_load_dwordx2 v[71:72], v[5:6], off
	v_cmp_gt_u32_e64 s[0:1], 4, v74
                                        ; implicit-def: $vgpr5
	s_and_saveexec_b64 s[8:9], s[0:1]
	s_cbranch_execz .LBB0_13
; %bb.12:
	v_add_u32_e32 v9, 17, v74
	v_add_u32_e32 v13, 38, v74
	v_mad_u64_u32 v[5:6], s[0:1], s20, v9, 0
	v_mad_u64_u32 v[7:8], s[0:1], s20, v13, 0
	v_or_b32_e32 v16, 0x50, v74
	v_add_u32_e32 v23, 0x65, v74
	v_mad_u64_u32 v[9:10], s[0:1], s21, v9, v[6:7]
	v_add_u32_e32 v67, 0x122, v74
	v_mov_b32_e32 v6, v9
	v_mad_u64_u32 v[8:9], s[0:1], s21, v13, v[8:9]
	v_add_u32_e32 v13, 59, v74
	v_mad_u64_u32 v[9:10], s[0:1], s20, v13, 0
	v_lshlrev_b64 v[5:6], 3, v[5:6]
	v_lshlrev_b64 v[7:8], 3, v[7:8]
	v_add_co_u32_e64 v5, s[0:1], v0, v5
	v_addc_co_u32_e64 v6, s[0:1], v68, v6, s[0:1]
	v_mad_u64_u32 v[13:14], s[0:1], s21, v13, v[10:11]
	v_mad_u64_u32 v[14:15], s[0:1], s20, v16, 0
	v_add_co_u32_e64 v7, s[0:1], v0, v7
	v_mov_b32_e32 v10, v13
	v_mov_b32_e32 v13, v15
	v_addc_co_u32_e64 v8, s[0:1], v68, v8, s[0:1]
	v_mad_u64_u32 v[15:16], s[0:1], s21, v16, v[13:14]
	v_lshlrev_b64 v[9:10], 3, v[9:10]
	v_add_co_u32_e64 v9, s[0:1], v0, v9
	v_addc_co_u32_e64 v10, s[0:1], v68, v10, s[0:1]
	v_lshlrev_b64 v[13:14], 3, v[14:15]
	v_mad_u64_u32 v[15:16], s[0:1], s20, v23, 0
	v_add_co_u32_e64 v19, s[0:1], v0, v13
	v_mov_b32_e32 v13, v16
	v_addc_co_u32_e64 v20, s[0:1], v68, v14, s[0:1]
	v_mad_u64_u32 v[23:24], s[0:1], s21, v23, v[13:14]
	v_add_u32_e32 v24, 0x7a, v74
	v_mad_u64_u32 v[29:30], s[0:1], s20, v24, 0
	global_load_dwordx2 v[13:14], v[5:6], off
	global_load_dwordx2 v[49:50], v[7:8], off
	global_load_dwordx2 v[37:38], v[9:10], off
	global_load_dwordx2 v[27:28], v[19:20], off
	v_add_u32_e32 v10, 0x8f, v74
	v_mov_b32_e32 v7, v30
	v_mad_u64_u32 v[7:8], s[0:1], s21, v24, v[7:8]
	v_mad_u64_u32 v[8:9], s[0:1], s20, v10, 0
	v_mov_b32_e32 v16, v23
	v_lshlrev_b64 v[5:6], 3, v[15:16]
	v_mov_b32_e32 v30, v7
	v_add_co_u32_e64 v5, s[0:1], v0, v5
	v_mov_b32_e32 v7, v9
	v_addc_co_u32_e64 v6, s[0:1], v68, v6, s[0:1]
	v_mad_u64_u32 v[9:10], s[0:1], s21, v10, v[7:8]
	v_or_b32_e32 v10, 0xa4, v74
	v_mad_u64_u32 v[19:20], s[0:1], s20, v10, 0
	v_lshlrev_b64 v[15:16], 3, v[29:30]
	v_lshlrev_b64 v[7:8], 3, v[8:9]
	v_add_co_u32_e64 v29, s[0:1], v0, v15
	v_mov_b32_e32 v9, v20
	v_addc_co_u32_e64 v30, s[0:1], v68, v16, s[0:1]
	v_mad_u64_u32 v[9:10], s[0:1], s21, v10, v[9:10]
	v_add_co_u32_e64 v51, s[0:1], v0, v7
	v_add_u32_e32 v15, 0xb9, v74
	v_addc_co_u32_e64 v52, s[0:1], v68, v8, s[0:1]
	v_mov_b32_e32 v20, v9
	v_mad_u64_u32 v[9:10], s[0:1], s20, v15, 0
	v_lshlrev_b64 v[7:8], 3, v[19:20]
	v_add_co_u32_e64 v19, s[0:1], v0, v7
	v_mov_b32_e32 v7, v10
	v_addc_co_u32_e64 v20, s[0:1], v68, v8, s[0:1]
	v_mad_u64_u32 v[55:56], s[0:1], s21, v15, v[7:8]
	v_add_u32_e32 v56, 0xce, v74
	v_mad_u64_u32 v[59:60], s[0:1], s20, v56, 0
	v_mov_b32_e32 v10, v55
	global_load_dwordx2 v[33:34], v[5:6], off
	global_load_dwordx2 v[23:24], v[29:30], off
	;; [unrolled: 1-line block ×4, first 2 shown]
	v_lshlrev_b64 v[5:6], 3, v[9:10]
	v_mov_b32_e32 v9, v60
	v_mad_u64_u32 v[9:10], s[0:1], s21, v56, v[9:10]
	v_add_u32_e32 v10, 0xe3, v74
	v_mad_u64_u32 v[19:20], s[0:1], s20, v10, 0
	v_add_co_u32_e64 v51, s[0:1], v0, v5
	v_mov_b32_e32 v60, v9
	v_mov_b32_e32 v9, v20
	v_addc_co_u32_e64 v52, s[0:1], v68, v6, s[0:1]
	v_mad_u64_u32 v[9:10], s[0:1], s21, v10, v[9:10]
	v_or_b32_e32 v10, 0xf8, v74
	v_mad_u64_u32 v[29:30], s[0:1], s20, v10, 0
	v_lshlrev_b64 v[5:6], 3, v[59:60]
	v_mov_b32_e32 v20, v9
	v_add_co_u32_e64 v55, s[0:1], v0, v5
	v_mov_b32_e32 v9, v30
	v_addc_co_u32_e64 v56, s[0:1], v68, v6, s[0:1]
	v_mad_u64_u32 v[9:10], s[0:1], s21, v10, v[9:10]
	v_lshlrev_b64 v[5:6], 3, v[19:20]
	v_add_co_u32_e64 v59, s[0:1], v0, v5
	v_mov_b32_e32 v30, v9
	v_add_u32_e32 v9, 0x10d, v74
	v_addc_co_u32_e64 v60, s[0:1], v68, v6, s[0:1]
	v_mad_u64_u32 v[63:64], s[0:1], s20, v9, 0
	v_lshlrev_b64 v[5:6], 3, v[29:30]
	v_add_co_u32_e64 v75, s[0:1], v0, v5
	v_mov_b32_e32 v5, v64
	v_addc_co_u32_e64 v76, s[0:1], v68, v6, s[0:1]
	v_mad_u64_u32 v[77:78], s[0:1], s21, v9, v[5:6]
	v_mad_u64_u32 v[78:79], s[0:1], s20, v67, 0
	global_load_dwordx2 v[9:10], v[51:52], off
	global_load_dwordx2 v[5:6], v[55:56], off
	;; [unrolled: 1-line block ×4, first 2 shown]
	v_mov_b32_e32 v64, v77
	v_mov_b32_e32 v55, v79
	v_mad_u64_u32 v[55:56], s[0:1], s21, v67, v[55:56]
	v_add_u32_e32 v56, 0x137, v74
	v_mad_u64_u32 v[59:60], s[0:1], s20, v56, 0
	v_lshlrev_b64 v[51:52], 3, v[63:64]
	v_mov_b32_e32 v79, v55
	v_add_co_u32_e64 v75, s[0:1], v0, v51
	v_mov_b32_e32 v55, v60
	v_addc_co_u32_e64 v76, s[0:1], v68, v52, s[0:1]
	v_mad_u64_u32 v[55:56], s[0:1], s21, v56, v[55:56]
	v_or_b32_e32 v56, 0x14c, v74
	v_mad_u64_u32 v[63:64], s[0:1], s20, v56, 0
	v_lshlrev_b64 v[51:52], 3, v[78:79]
	v_mov_b32_e32 v60, v55
	v_add_co_u32_e64 v77, s[0:1], v0, v51
	v_mov_b32_e32 v55, v64
	v_addc_co_u32_e64 v78, s[0:1], v68, v52, s[0:1]
	v_mad_u64_u32 v[55:56], s[0:1], s21, v56, v[55:56]
	v_lshlrev_b64 v[51:52], 3, v[59:60]
	v_add_co_u32_e64 v79, s[0:1], v0, v51
	v_mov_b32_e32 v64, v55
	v_add_u32_e32 v55, 0x161, v74
	v_addc_co_u32_e64 v80, s[0:1], v68, v52, s[0:1]
	v_mad_u64_u32 v[81:82], s[0:1], s20, v55, 0
	v_lshlrev_b64 v[51:52], 3, v[63:64]
	v_add_co_u32_e64 v83, s[0:1], v0, v51
	v_mov_b32_e32 v51, v82
	v_addc_co_u32_e64 v84, s[0:1], v68, v52, s[0:1]
	v_mad_u64_u32 v[85:86], s[0:1], s21, v55, v[51:52]
	global_load_dwordx2 v[51:52], v[75:76], off
	global_load_dwordx2 v[55:56], v[77:78], off
	global_load_dwordx2 v[59:60], v[79:80], off
	global_load_dwordx2 v[63:64], v[83:84], off
	v_mov_b32_e32 v82, v85
	v_lshlrev_b64 v[75:76], 3, v[81:82]
	v_add_co_u32_e64 v67, s[0:1], v0, v75
	v_addc_co_u32_e64 v68, s[0:1], v68, v76, s[0:1]
	global_load_dwordx2 v[67:68], v[67:68], off
.LBB0_13:
	s_or_b64 exec, exec, s[8:9]
.LBB0_14:
	s_or_b64 exec, exec, s[6:7]
	s_mov_b32 s0, 0xba2e8ba3
	v_mul_hi_u32 v0, v73, s0
	v_add_f32_e32 v75, v43, v53
	v_add_f32_e32 v75, v75, v45
	;; [unrolled: 1-line block ×3, first 2 shown]
	v_lshrrev_b32_e32 v0, 3, v0
	v_mul_lo_u32 v0, v0, 11
	v_add_f32_e32 v75, v75, v39
	v_add_f32_e32 v75, v75, v31
	s_waitcnt vmcnt(0)
	v_sub_f32_e32 v76, v54, v72
	v_add_f32_e32 v75, v75, v21
	v_mul_f32_e32 v77, 0xbeb8f4ab, v76
	v_mul_f32_e32 v79, 0xbf2c7751, v76
	;; [unrolled: 1-line block ×8, first 2 shown]
	v_sub_u32_e32 v0, v73, v0
	v_add_f32_e32 v73, v75, v11
	v_add_f32_e32 v75, v53, v71
	s_mov_b32 s16, 0x3f6eb680
	v_mov_b32_e32 v78, v77
	s_mov_b32 s14, 0x3f3d2fb0
	v_mov_b32_e32 v80, v79
	;; [unrolled: 2-line block ×8, first 2 shown]
	v_fmac_f32_e32 v78, 0x3f6eb680, v75
	v_fma_f32 v77, v75, s16, -v77
	v_fmac_f32_e32 v80, 0x3f3d2fb0, v75
	v_fma_f32 v79, v75, s14, -v79
	;; [unrolled: 2-line block ×8, first 2 shown]
	v_sub_f32_e32 v76, v46, v70
	v_add_f32_e32 v78, v78, v43
	v_add_f32_e32 v77, v77, v43
	;; [unrolled: 1-line block ×17, first 2 shown]
	v_mul_f32_e32 v92, 0xbf2c7751, v76
	v_mov_b32_e32 v93, v92
	v_fma_f32 v92, v75, s14, -v92
	v_fmac_f32_e32 v93, 0x3f3d2fb0, v75
	v_add_f32_e32 v77, v92, v77
	v_mul_f32_e32 v92, 0xbf7ee86f, v76
	v_add_f32_e32 v78, v93, v78
	v_mov_b32_e32 v93, v92
	v_fma_f32 v92, v75, s8, -v92
	v_fmac_f32_e32 v93, 0x3dbcf732, v75
	v_add_f32_e32 v79, v92, v79
	v_mul_f32_e32 v92, 0xbf4c4adb, v76
	v_add_f32_e32 v80, v93, v80
	v_mov_b32_e32 v93, v92
	v_fma_f32 v92, v75, s17, -v92
	v_fmac_f32_e32 v93, 0xbf1a4643, v75
	v_add_f32_e32 v81, v92, v81
	v_mul_f32_e32 v92, 0xbe3c28d5, v76
	v_add_f32_e32 v82, v93, v82
	v_mov_b32_e32 v93, v92
	v_fma_f32 v92, v75, s19, -v92
	v_fmac_f32_e32 v93, 0xbf7ba420, v75
	v_add_f32_e32 v83, v92, v83
	v_mul_f32_e32 v92, 0x3f06c442, v76
	v_add_f32_e32 v84, v93, v84
	v_mov_b32_e32 v93, v92
	v_fma_f32 v92, v75, s18, -v92
	v_fmac_f32_e32 v93, 0xbf59a7d5, v75
	v_add_f32_e32 v85, v92, v85
	v_mul_f32_e32 v92, 0x3f763a35, v76
	v_add_f32_e32 v86, v93, v86
	v_mov_b32_e32 v93, v92
	v_fma_f32 v92, v75, s15, -v92
	v_fmac_f32_e32 v93, 0xbe8c1d8e, v75
	v_add_f32_e32 v87, v92, v87
	v_mul_f32_e32 v92, 0x3f65296c, v76
	v_add_f32_e32 v88, v93, v88
	v_mov_b32_e32 v93, v92
	v_fma_f32 v92, v75, s9, -v92
	v_mul_f32_e32 v76, 0x3eb8f4ab, v76
	v_add_f32_e32 v89, v92, v89
	v_mov_b32_e32 v92, v76
	v_fmac_f32_e32 v93, 0x3ee437d1, v75
	v_fmac_f32_e32 v92, 0x3f6eb680, v75
	v_fma_f32 v75, v75, s16, -v76
	v_sub_f32_e32 v76, v36, v66
	v_add_f32_e32 v91, v92, v91
	v_add_f32_e32 v43, v75, v43
	v_add_f32_e32 v75, v35, v65
	v_mul_f32_e32 v92, 0xbf65296c, v76
	v_add_f32_e32 v90, v93, v90
	v_mov_b32_e32 v93, v92
	v_fma_f32 v92, v75, s9, -v92
	v_fmac_f32_e32 v93, 0x3ee437d1, v75
	v_add_f32_e32 v77, v92, v77
	v_mul_f32_e32 v92, 0xbf4c4adb, v76
	v_add_f32_e32 v78, v93, v78
	v_mov_b32_e32 v93, v92
	v_fma_f32 v92, v75, s17, -v92
	v_fmac_f32_e32 v93, 0xbf1a4643, v75
	v_add_f32_e32 v79, v92, v79
	v_mul_f32_e32 v92, 0x3e3c28d5, v76
	v_add_f32_e32 v80, v93, v80
	v_mov_b32_e32 v93, v92
	v_fma_f32 v92, v75, s19, -v92
	v_fmac_f32_e32 v93, 0xbf7ba420, v75
	v_add_f32_e32 v81, v92, v81
	v_mul_f32_e32 v92, 0x3f763a35, v76
	v_add_f32_e32 v82, v93, v82
	v_mov_b32_e32 v93, v92
	v_fma_f32 v92, v75, s15, -v92
	v_fmac_f32_e32 v93, 0xbe8c1d8e, v75
	v_add_f32_e32 v83, v92, v83
	v_mul_f32_e32 v92, 0x3f2c7751, v76
	v_add_f32_e32 v84, v93, v84
	v_mov_b32_e32 v93, v92
	v_fma_f32 v92, v75, s14, -v92
	v_fmac_f32_e32 v93, 0x3f3d2fb0, v75
	v_add_f32_e32 v85, v92, v85
	v_mul_f32_e32 v92, 0xbeb8f4ab, v76
	v_add_f32_e32 v86, v93, v86
	v_mov_b32_e32 v93, v92
	v_fma_f32 v92, v75, s16, -v92
	v_fmac_f32_e32 v93, 0x3f6eb680, v75
	v_add_f32_e32 v87, v92, v87
	v_mul_f32_e32 v92, 0xbf7ee86f, v76
	v_add_f32_e32 v88, v93, v88
	v_mov_b32_e32 v93, v92
	v_fma_f32 v92, v75, s8, -v92
	v_mul_f32_e32 v76, 0xbf06c442, v76
	v_add_f32_e32 v89, v92, v89
	v_mov_b32_e32 v92, v76
	v_fmac_f32_e32 v93, 0x3dbcf732, v75
	v_fmac_f32_e32 v92, 0xbf59a7d5, v75
	v_fma_f32 v75, v75, s18, -v76
	v_sub_f32_e32 v76, v40, v62
	v_add_f32_e32 v91, v92, v91
	v_add_f32_e32 v43, v75, v43
	v_add_f32_e32 v75, v61, v39
	v_mul_f32_e32 v92, 0xbf7ee86f, v76
	v_add_f32_e32 v90, v93, v90
	;; [unrolled: 50-line block ×6, first 2 shown]
	v_mov_b32_e32 v93, v92
	v_fma_f32 v92, v75, s19, -v92
	v_fmac_f32_e32 v93, 0xbf7ba420, v75
	v_add_f32_e32 v77, v92, v77
	v_mul_f32_e32 v92, 0x3eb8f4ab, v76
	v_add_f32_e32 v78, v93, v78
	v_mov_b32_e32 v93, v92
	v_fma_f32 v92, v75, s16, -v92
	v_fmac_f32_e32 v93, 0x3f6eb680, v75
	v_add_f32_e32 v79, v92, v79
	v_mul_f32_e32 v92, 0xbf06c442, v76
	v_add_f32_e32 v80, v93, v80
	;; [unrolled: 6-line block ×4, first 2 shown]
	v_add_f32_e32 v84, v93, v84
	v_mov_b32_e32 v93, v92
	v_fma_f32 v92, v75, s17, -v92
	v_add_f32_e32 v73, v73, v25
	v_fmac_f32_e32 v93, 0xbf1a4643, v75
	v_add_f32_e32 v85, v92, v85
	v_mul_f32_e32 v92, 0x3f65296c, v76
	v_add_f32_e32 v73, v73, v41
	v_add_f32_e32 v86, v93, v86
	v_mov_b32_e32 v93, v92
	v_fma_f32 v92, v75, s9, -v92
	v_add_f32_e32 v73, v73, v47
	v_fmac_f32_e32 v93, 0x3ee437d1, v75
	v_add_f32_e32 v87, v92, v87
	v_mul_f32_e32 v92, 0xbf763a35, v76
	v_add_f32_e32 v73, v57, v73
	v_add_f32_e32 v88, v93, v88
	v_mov_b32_e32 v93, v92
	v_fma_f32 v92, v75, s15, -v92
	v_mul_f32_e32 v76, 0x3f7ee86f, v76
	v_add_f32_e32 v73, v61, v73
	v_add_f32_e32 v89, v92, v89
	v_mov_b32_e32 v92, v76
	v_mul_u32_u24_e32 v0, 0x165, v0
	v_add_f32_e32 v73, v73, v65
	v_fmac_f32_e32 v93, 0xbe8c1d8e, v75
	v_fmac_f32_e32 v92, 0x3dbcf732, v75
	v_fma_f32 v75, v75, s8, -v76
	v_add_f32_e32 v73, v73, v69
	v_add_f32_e32 v43, v75, v43
	v_mul_u32_u24_e32 v75, 0x44, v74
	v_lshlrev_b32_e32 v0, 2, v0
	v_add_f32_e32 v73, v73, v71
	v_add3_u32 v75, 0, v75, v0
	v_add_f32_e32 v90, v93, v90
	v_add_f32_e32 v91, v92, v91
	ds_write2_b32 v75, v73, v78 offset1:1
	ds_write2_b32 v75, v80, v82 offset0:2 offset1:3
	ds_write2_b32 v75, v84, v86 offset0:4 offset1:5
	;; [unrolled: 1-line block ×7, first 2 shown]
	ds_write_b32 v75, v77 offset:64
	v_add_u32_e32 v73, 17, v74
	v_cmp_gt_u32_e64 s[0:1], 4, v74
	s_and_saveexec_b64 s[6:7], s[0:1]
	s_cbranch_execz .LBB0_16
; %bb.15:
	v_add_f32_e32 v43, v49, v67
	v_mul_f32_e32 v76, 0xbf7ba420, v43
	v_add_f32_e32 v79, v37, v63
	v_sub_f32_e32 v77, v50, v68
	v_mov_b32_e32 v78, v76
	v_mul_f32_e32 v80, 0x3f6eb680, v79
	v_fmac_f32_e32 v78, 0x3e3c28d5, v77
	v_sub_f32_e32 v81, v38, v64
	v_mov_b32_e32 v82, v80
	v_add_f32_e32 v78, v13, v78
	v_fmac_f32_e32 v82, 0xbeb8f4ab, v81
	v_add_f32_e32 v78, v78, v82
	v_add_f32_e32 v82, v27, v59
	v_mul_f32_e32 v83, 0xbf59a7d5, v82
	v_sub_f32_e32 v84, v28, v60
	v_mov_b32_e32 v85, v83
	v_fmac_f32_e32 v85, 0x3f06c442, v84
	v_add_f32_e32 v78, v78, v85
	v_add_f32_e32 v85, v33, v55
	v_mul_f32_e32 v86, 0x3f3d2fb0, v85
	v_sub_f32_e32 v87, v34, v56
	v_mov_b32_e32 v88, v86
	v_fmac_f32_e32 v88, 0xbf2c7751, v87
	v_add_f32_e32 v78, v78, v88
	v_add_f32_e32 v88, v23, v51
	v_mul_f32_e32 v89, 0xbf1a4643, v88
	v_fmac_f32_e32 v76, 0xbe3c28d5, v77
	v_sub_f32_e32 v90, v24, v52
	v_mov_b32_e32 v91, v89
	v_add_f32_e32 v76, v13, v76
	v_fmac_f32_e32 v80, 0x3eb8f4ab, v81
	v_fmac_f32_e32 v91, 0x3f4c4adb, v90
	v_add_f32_e32 v76, v76, v80
	v_fmac_f32_e32 v83, 0xbf06c442, v84
	v_add_f32_e32 v78, v78, v91
	v_add_f32_e32 v91, v15, v29
	;; [unrolled: 1-line block ×3, first 2 shown]
	v_fmac_f32_e32 v86, 0x3f2c7751, v87
	v_mul_f32_e32 v80, 0xbf59a7d5, v43
	v_mul_f32_e32 v92, 0x3ee437d1, v91
	v_add_f32_e32 v76, v76, v86
	v_fmac_f32_e32 v89, 0xbf4c4adb, v90
	v_mov_b32_e32 v83, v80
	v_mul_f32_e32 v86, 0x3ee437d1, v79
	v_sub_f32_e32 v93, v16, v30
	v_mov_b32_e32 v94, v92
	v_add_f32_e32 v76, v76, v89
	v_fmac_f32_e32 v83, 0x3f06c442, v77
	v_mov_b32_e32 v89, v86
	v_fmac_f32_e32 v94, 0xbf65296c, v93
	v_add_f32_e32 v83, v13, v83
	v_fmac_f32_e32 v89, 0xbf65296c, v81
	v_add_f32_e32 v78, v78, v94
	v_add_f32_e32 v94, v7, v19
	v_fmac_f32_e32 v92, 0x3f65296c, v93
	v_add_f32_e32 v83, v83, v89
	v_mul_f32_e32 v89, 0x3dbcf732, v82
	v_mul_f32_e32 v95, 0xbe8c1d8e, v94
	v_add_f32_e32 v76, v76, v92
	v_mov_b32_e32 v92, v89
	v_sub_f32_e32 v96, v8, v20
	v_mov_b32_e32 v97, v95
	v_fmac_f32_e32 v92, 0x3f7ee86f, v84
	v_fmac_f32_e32 v97, 0x3f763a35, v96
	v_fmac_f32_e32 v95, 0xbf763a35, v96
	v_add_f32_e32 v83, v83, v92
	v_mul_f32_e32 v92, 0xbf1a4643, v85
	v_fmac_f32_e32 v80, 0xbf06c442, v77
	v_add_f32_e32 v78, v78, v97
	v_add_f32_e32 v97, v9, v5
	;; [unrolled: 1-line block ×3, first 2 shown]
	v_mov_b32_e32 v95, v92
	v_add_f32_e32 v80, v13, v80
	v_fmac_f32_e32 v86, 0x3f65296c, v81
	v_mul_f32_e32 v98, 0x3dbcf732, v97
	v_sub_f32_e32 v99, v10, v6
	v_fmac_f32_e32 v95, 0xbf4c4adb, v87
	v_add_f32_e32 v80, v80, v86
	v_fmac_f32_e32 v89, 0xbf7ee86f, v84
	v_mov_b32_e32 v100, v98
	v_fmac_f32_e32 v98, 0x3f7ee86f, v99
	v_add_f32_e32 v83, v83, v95
	v_mul_f32_e32 v95, 0x3f6eb680, v88
	v_add_f32_e32 v80, v80, v89
	v_fmac_f32_e32 v92, 0x3f4c4adb, v87
	v_mul_f32_e32 v86, 0xbf1a4643, v43
	v_add_f32_e32 v76, v76, v98
	v_mov_b32_e32 v98, v95
	v_add_f32_e32 v80, v80, v92
	v_fmac_f32_e32 v95, 0xbeb8f4ab, v90
	v_mov_b32_e32 v89, v86
	v_mul_f32_e32 v92, 0xbe8c1d8e, v79
	v_fmac_f32_e32 v98, 0x3eb8f4ab, v90
	v_add_f32_e32 v80, v80, v95
	v_fmac_f32_e32 v89, 0x3f4c4adb, v77
	v_mov_b32_e32 v95, v92
	v_fmac_f32_e32 v100, 0xbf7ee86f, v99
	v_add_f32_e32 v83, v83, v98
	v_mul_f32_e32 v98, 0xbf7ba420, v91
	v_add_f32_e32 v89, v13, v89
	v_fmac_f32_e32 v95, 0xbf763a35, v81
	v_add_f32_e32 v78, v78, v100
	v_mov_b32_e32 v100, v98
	v_fmac_f32_e32 v98, 0xbe3c28d5, v93
	v_add_f32_e32 v89, v89, v95
	v_mul_f32_e32 v95, 0x3f6eb680, v82
	v_fmac_f32_e32 v100, 0x3e3c28d5, v93
	v_add_f32_e32 v80, v80, v98
	v_mov_b32_e32 v98, v95
	v_add_f32_e32 v83, v83, v100
	v_mul_f32_e32 v100, 0x3f3d2fb0, v94
	v_fmac_f32_e32 v98, 0x3eb8f4ab, v84
	v_mov_b32_e32 v101, v100
	v_fmac_f32_e32 v100, 0x3f2c7751, v96
	v_add_f32_e32 v89, v89, v98
	v_mul_f32_e32 v98, 0xbf59a7d5, v85
	v_fmac_f32_e32 v86, 0xbf4c4adb, v77
	v_fmac_f32_e32 v101, 0xbf2c7751, v96
	v_add_f32_e32 v80, v80, v100
	v_mov_b32_e32 v100, v98
	v_add_f32_e32 v86, v13, v86
	v_fmac_f32_e32 v92, 0x3f763a35, v81
	v_add_f32_e32 v83, v83, v101
	v_mul_f32_e32 v101, 0xbe8c1d8e, v97
	v_fmac_f32_e32 v100, 0x3f06c442, v87
	v_add_f32_e32 v86, v86, v92
	v_fmac_f32_e32 v95, 0xbeb8f4ab, v84
	v_mov_b32_e32 v102, v101
	v_fmac_f32_e32 v101, 0xbf763a35, v99
	v_add_f32_e32 v89, v89, v100
	v_mul_f32_e32 v100, 0x3dbcf732, v88
	v_add_f32_e32 v86, v86, v95
	v_fmac_f32_e32 v98, 0xbf06c442, v87
	v_mul_f32_e32 v92, 0xbe8c1d8e, v43
	v_add_f32_e32 v80, v80, v101
	v_mov_b32_e32 v101, v100
	v_add_f32_e32 v86, v86, v98
	v_fmac_f32_e32 v100, 0x3f7ee86f, v90
	v_mov_b32_e32 v95, v92
	v_mul_f32_e32 v98, 0xbf59a7d5, v79
	v_fmac_f32_e32 v101, 0xbf7ee86f, v90
	v_add_f32_e32 v86, v86, v100
	v_fmac_f32_e32 v95, 0x3f763a35, v77
	v_mov_b32_e32 v100, v98
	v_fmac_f32_e32 v102, 0x3f763a35, v99
	v_add_f32_e32 v89, v89, v101
	v_mul_f32_e32 v101, 0x3f3d2fb0, v91
	v_add_f32_e32 v95, v13, v95
	v_fmac_f32_e32 v100, 0xbf06c442, v81
	v_add_f32_e32 v83, v83, v102
	v_mov_b32_e32 v102, v101
	v_fmac_f32_e32 v101, 0xbf2c7751, v93
	v_add_f32_e32 v95, v95, v100
	v_mul_f32_e32 v100, 0x3f3d2fb0, v82
	v_fmac_f32_e32 v102, 0x3f2c7751, v93
	v_add_f32_e32 v86, v86, v101
	v_mov_b32_e32 v101, v100
	v_add_f32_e32 v89, v89, v102
	v_mul_f32_e32 v102, 0xbf7ba420, v94
	v_fmac_f32_e32 v101, 0xbf2c7751, v84
	v_mov_b32_e32 v103, v102
	v_fmac_f32_e32 v102, 0xbe3c28d5, v96
	v_add_f32_e32 v95, v95, v101
	v_mul_f32_e32 v101, 0x3ee437d1, v85
	v_fmac_f32_e32 v92, 0xbf763a35, v77
	v_fmac_f32_e32 v103, 0x3e3c28d5, v96
	v_add_f32_e32 v86, v86, v102
	v_mov_b32_e32 v102, v101
	v_add_f32_e32 v92, v13, v92
	v_fmac_f32_e32 v98, 0x3f06c442, v81
	v_add_f32_e32 v89, v89, v103
	v_mul_f32_e32 v103, 0x3ee437d1, v97
	;; [unrolled: 48-line block ×4, first 2 shown]
	v_fmac_f32_e32 v106, 0xbf763a35, v87
	v_add_f32_e32 v101, v101, v103
	v_fmac_f32_e32 v104, 0x3e3c28d5, v84
	v_mov_b32_e32 v108, v107
	v_fmac_f32_e32 v107, 0x3f2c7751, v99
	v_add_f32_e32 v102, v102, v106
	v_mul_f32_e32 v106, 0x3f3d2fb0, v88
	v_add_f32_e32 v101, v101, v104
	v_fmac_f32_e32 v105, 0x3f763a35, v87
	v_mul_f32_e32 v103, 0x3f3d2fb0, v43
	v_add_f32_e32 v98, v98, v107
	v_mov_b32_e32 v107, v106
	v_add_f32_e32 v101, v101, v105
	v_fmac_f32_e32 v106, 0x3f2c7751, v90
	v_mov_b32_e32 v104, v103
	v_mul_f32_e32 v105, 0x3dbcf732, v79
	v_fmac_f32_e32 v107, 0xbf2c7751, v90
	v_add_f32_e32 v101, v101, v106
	v_fmac_f32_e32 v104, 0x3f2c7751, v77
	v_mov_b32_e32 v106, v105
	v_fmac_f32_e32 v103, 0xbf2c7751, v77
	v_fmac_f32_e32 v108, 0xbf2c7751, v99
	v_add_f32_e32 v102, v102, v107
	v_mul_f32_e32 v107, 0x3f6eb680, v91
	v_add_f32_e32 v104, v13, v104
	v_fmac_f32_e32 v106, 0x3f7ee86f, v81
	v_add_f32_e32 v103, v13, v103
	v_fmac_f32_e32 v105, 0xbf7ee86f, v81
	v_mul_f32_e32 v43, 0x3f6eb680, v43
	v_add_f32_e32 v100, v100, v108
	v_mov_b32_e32 v108, v107
	v_fmac_f32_e32 v107, 0xbeb8f4ab, v93
	v_add_f32_e32 v104, v104, v106
	v_mul_f32_e32 v106, 0xbf1a4643, v82
	v_add_f32_e32 v103, v103, v105
	v_mov_b32_e32 v105, v43
	v_fmac_f32_e32 v108, 0x3eb8f4ab, v93
	v_add_f32_e32 v101, v101, v107
	v_mov_b32_e32 v107, v106
	v_fmac_f32_e32 v105, 0x3eb8f4ab, v77
	v_fmac_f32_e32 v43, 0xbeb8f4ab, v77
	v_add_f32_e32 v102, v102, v108
	v_mul_f32_e32 v108, 0x3dbcf732, v94
	v_fmac_f32_e32 v107, 0x3f4c4adb, v84
	v_add_f32_e32 v105, v13, v105
	v_add_f32_e32 v43, v13, v43
	;; [unrolled: 1-line block ×3, first 2 shown]
	v_mov_b32_e32 v109, v108
	v_fmac_f32_e32 v108, 0xbf7ee86f, v96
	v_add_f32_e32 v104, v104, v107
	v_mul_f32_e32 v107, 0xbf7ba420, v85
	v_fmac_f32_e32 v106, 0xbf4c4adb, v84
	v_mul_f32_e32 v79, 0x3f3d2fb0, v79
	v_add_f32_e32 v13, v13, v37
	v_fmac_f32_e32 v109, 0x3f7ee86f, v96
	v_add_f32_e32 v101, v101, v108
	v_mov_b32_e32 v108, v107
	v_add_f32_e32 v103, v103, v106
	v_mov_b32_e32 v106, v79
	v_add_f32_e32 v13, v13, v27
	v_add_f32_e32 v102, v102, v109
	v_mul_f32_e32 v109, 0xbf59a7d5, v97
	v_fmac_f32_e32 v108, 0x3e3c28d5, v87
	v_fmac_f32_e32 v106, 0x3f2c7751, v81
	v_mul_f32_e32 v82, 0x3ee437d1, v82
	v_add_f32_e32 v13, v13, v33
	v_mov_b32_e32 v110, v109
	v_fmac_f32_e32 v109, 0xbf06c442, v99
	v_add_f32_e32 v104, v104, v108
	v_mul_f32_e32 v108, 0xbf59a7d5, v88
	v_add_f32_e32 v105, v105, v106
	v_mov_b32_e32 v106, v82
	v_add_f32_e32 v13, v13, v23
	v_add_f32_e32 v101, v101, v109
	v_mov_b32_e32 v109, v108
	v_fmac_f32_e32 v106, 0x3f65296c, v84
	v_mul_f32_e32 v85, 0x3dbcf732, v85
	v_add_f32_e32 v13, v13, v15
	v_fmac_f32_e32 v109, 0xbf06c442, v90
	v_add_f32_e32 v105, v105, v106
	v_mov_b32_e32 v106, v85
	v_add_f32_e32 v13, v13, v7
	v_fmac_f32_e32 v110, 0x3f06c442, v99
	v_add_f32_e32 v104, v104, v109
	v_mul_f32_e32 v109, 0xbe8c1d8e, v91
	v_fmac_f32_e32 v106, 0x3f7ee86f, v87
	v_mul_f32_e32 v88, 0xbe8c1d8e, v88
	v_add_f32_e32 v13, v13, v9
	v_add_f32_e32 v102, v102, v110
	v_mov_b32_e32 v110, v109
	v_add_f32_e32 v105, v105, v106
	v_mov_b32_e32 v106, v88
	v_fmac_f32_e32 v79, 0xbf2c7751, v81
	v_add_f32_e32 v13, v13, v5
	v_fmac_f32_e32 v110, 0xbf763a35, v93
	v_fmac_f32_e32 v106, 0x3f763a35, v90
	v_mul_f32_e32 v91, 0xbf1a4643, v91
	v_add_f32_e32 v43, v43, v79
	v_fmac_f32_e32 v82, 0xbf65296c, v84
	v_add_f32_e32 v13, v19, v13
	v_add_f32_e32 v104, v104, v110
	v_mul_f32_e32 v110, 0x3ee437d1, v94
	v_add_f32_e32 v105, v105, v106
	v_mov_b32_e32 v106, v91
	v_add_f32_e32 v43, v43, v82
	v_fmac_f32_e32 v85, 0xbf7ee86f, v87
	v_add_f32_e32 v13, v29, v13
	v_mov_b32_e32 v111, v110
	v_fmac_f32_e32 v107, 0xbe3c28d5, v87
	v_fmac_f32_e32 v106, 0x3f4c4adb, v93
	v_mul_f32_e32 v94, 0xbf59a7d5, v94
	v_add_f32_e32 v43, v43, v85
	v_fmac_f32_e32 v88, 0xbf763a35, v90
	v_add_f32_e32 v13, v51, v13
	v_fmac_f32_e32 v111, 0xbf65296c, v96
	;; [unrolled: 2-line block ×3, first 2 shown]
	v_add_f32_e32 v105, v105, v106
	v_mov_b32_e32 v106, v94
	v_add_f32_e32 v43, v43, v88
	v_fmac_f32_e32 v91, 0xbf4c4adb, v93
	v_add_f32_e32 v13, v55, v13
	v_add_f32_e32 v104, v104, v111
	v_mul_f32_e32 v111, 0x3f6eb680, v97
	v_add_f32_e32 v103, v103, v108
	v_fmac_f32_e32 v109, 0x3f763a35, v93
	v_fmac_f32_e32 v106, 0x3f06c442, v96
	v_mul_f32_e32 v97, 0xbf7ba420, v97
	v_add_f32_e32 v43, v43, v91
	v_fmac_f32_e32 v94, 0xbf06c442, v96
	v_add_f32_e32 v13, v59, v13
	v_mov_b32_e32 v112, v111
	v_add_f32_e32 v103, v103, v109
	v_fmac_f32_e32 v110, 0x3f65296c, v96
	v_add_f32_e32 v105, v105, v106
	v_mov_b32_e32 v106, v97
	v_add_f32_e32 v43, v43, v94
	v_fmac_f32_e32 v97, 0xbe3c28d5, v99
	v_add_f32_e32 v13, v63, v13
	v_mul_u32_u24_e32 v77, 0x44, v73
	v_fmac_f32_e32 v112, 0xbeb8f4ab, v99
	v_add_f32_e32 v103, v103, v110
	v_fmac_f32_e32 v111, 0x3eb8f4ab, v99
	v_fmac_f32_e32 v106, 0x3e3c28d5, v99
	v_add_f32_e32 v43, v43, v97
	v_add_f32_e32 v13, v67, v13
	v_add3_u32 v77, 0, v77, v0
	v_add_f32_e32 v104, v104, v112
	v_add_f32_e32 v103, v103, v111
	;; [unrolled: 1-line block ×3, first 2 shown]
	ds_write2_b32 v77, v13, v43 offset1:1
	ds_write2_b32 v77, v103, v101 offset0:2 offset1:3
	ds_write2_b32 v77, v98, v92 offset0:4 offset1:5
	;; [unrolled: 1-line block ×7, first 2 shown]
	ds_write_b32 v77, v105 offset:64
.LBB0_16:
	s_or_b64 exec, exec, s[6:7]
	v_add_f32_e32 v13, v44, v54
	v_add_f32_e32 v13, v13, v46
	;; [unrolled: 1-line block ×15, first 2 shown]
	v_sub_f32_e32 v43, v53, v71
	v_add_f32_e32 v76, v13, v72
	v_add_f32_e32 v13, v54, v72
	v_mul_f32_e32 v53, 0xbeb8f4ab, v43
	v_mul_f32_e32 v71, 0xbf2c7751, v43
	;; [unrolled: 1-line block ×8, first 2 shown]
	v_fma_f32 v54, v13, s16, -v53
	v_fmac_f32_e32 v53, 0x3f6eb680, v13
	v_fma_f32 v72, v13, s14, -v71
	v_fmac_f32_e32 v71, 0x3f3d2fb0, v13
	v_fma_f32 v78, v13, s9, -v77
	v_fmac_f32_e32 v77, 0x3ee437d1, v13
	v_fma_f32 v80, v13, s8, -v79
	v_fmac_f32_e32 v79, 0x3dbcf732, v13
	v_fma_f32 v82, v13, s15, -v81
	v_fmac_f32_e32 v81, 0xbe8c1d8e, v13
	v_fma_f32 v84, v13, s17, -v83
	v_fmac_f32_e32 v83, 0xbf1a4643, v13
	v_fma_f32 v86, v13, s18, -v85
	v_fmac_f32_e32 v85, 0xbf59a7d5, v13
	v_fma_f32 v87, v13, s19, -v43
	v_fmac_f32_e32 v43, 0xbf7ba420, v13
	v_add_f32_e32 v54, v54, v44
	v_add_f32_e32 v53, v53, v44
	;; [unrolled: 1-line block ×16, first 2 shown]
	v_sub_f32_e32 v44, v45, v69
	v_add_f32_e32 v43, v46, v70
	v_mul_f32_e32 v45, 0xbf2c7751, v44
	v_fma_f32 v46, v43, s14, -v45
	v_fmac_f32_e32 v45, 0x3f3d2fb0, v43
	v_add_f32_e32 v45, v45, v53
	v_mul_f32_e32 v53, 0xbf7ee86f, v44
	v_add_f32_e32 v46, v46, v54
	v_fma_f32 v54, v43, s8, -v53
	v_fmac_f32_e32 v53, 0x3dbcf732, v43
	v_mul_f32_e32 v69, 0xbf4c4adb, v44
	v_add_f32_e32 v53, v53, v71
	v_fma_f32 v70, v43, s17, -v69
	v_fmac_f32_e32 v69, 0xbf1a4643, v43
	v_mul_f32_e32 v71, 0xbe3c28d5, v44
	v_add_f32_e32 v54, v54, v72
	v_add_f32_e32 v69, v69, v77
	v_fma_f32 v72, v43, s19, -v71
	v_fmac_f32_e32 v71, 0xbf7ba420, v43
	v_mul_f32_e32 v77, 0x3f06c442, v44
	v_add_f32_e32 v70, v70, v78
	;; [unrolled: 5-line block ×3, first 2 shown]
	v_add_f32_e32 v77, v77, v81
	v_fma_f32 v80, v43, s15, -v79
	v_fmac_f32_e32 v79, 0xbe8c1d8e, v43
	v_mul_f32_e32 v81, 0x3f65296c, v44
	v_mul_f32_e32 v44, 0x3eb8f4ab, v44
	v_sub_f32_e32 v35, v35, v65
	v_add_f32_e32 v78, v78, v82
	v_add_f32_e32 v79, v79, v83
	v_fma_f32 v82, v43, s9, -v81
	v_fmac_f32_e32 v81, 0x3ee437d1, v43
	v_fma_f32 v83, v43, s16, -v44
	v_fmac_f32_e32 v44, 0x3f6eb680, v43
	v_add_f32_e32 v36, v36, v66
	v_mul_f32_e32 v43, 0xbf65296c, v35
	v_add_f32_e32 v13, v44, v13
	v_fma_f32 v44, v36, s9, -v43
	v_fmac_f32_e32 v43, 0x3ee437d1, v36
	v_add_f32_e32 v43, v43, v45
	v_mul_f32_e32 v45, 0xbf4c4adb, v35
	v_add_f32_e32 v44, v44, v46
	;; [unrolled: 5-line block ×3, first 2 shown]
	v_fma_f32 v54, v36, s19, -v53
	v_fmac_f32_e32 v53, 0xbf7ba420, v36
	v_mul_f32_e32 v65, 0x3f763a35, v35
	v_add_f32_e32 v53, v53, v69
	v_fma_f32 v66, v36, s15, -v65
	v_fmac_f32_e32 v65, 0xbe8c1d8e, v36
	v_mul_f32_e32 v69, 0x3f2c7751, v35
	v_add_f32_e32 v54, v54, v70
	v_add_f32_e32 v65, v65, v71
	v_fma_f32 v70, v36, s14, -v69
	v_fmac_f32_e32 v69, 0x3f3d2fb0, v36
	v_mul_f32_e32 v71, 0xbeb8f4ab, v35
	v_add_f32_e32 v66, v66, v72
	v_add_f32_e32 v69, v69, v77
	v_fma_f32 v72, v36, s16, -v71
	v_fmac_f32_e32 v71, 0x3f6eb680, v36
	v_mul_f32_e32 v77, 0xbf7ee86f, v35
	v_mul_f32_e32 v35, 0xbf06c442, v35
	v_add_f32_e32 v70, v70, v78
	v_add_f32_e32 v71, v71, v79
	v_fma_f32 v78, v36, s8, -v77
	v_fmac_f32_e32 v77, 0x3dbcf732, v36
	v_fma_f32 v79, v36, s18, -v35
	v_fmac_f32_e32 v35, 0xbf59a7d5, v36
	v_sub_f32_e32 v36, v39, v61
	v_add_f32_e32 v13, v35, v13
	v_add_f32_e32 v35, v62, v40
	v_mul_f32_e32 v39, 0xbf7ee86f, v36
	v_fma_f32 v40, v35, s8, -v39
	v_fmac_f32_e32 v39, 0x3dbcf732, v35
	v_add_f32_e32 v39, v43, v39
	v_mul_f32_e32 v43, 0xbe3c28d5, v36
	v_add_f32_e32 v40, v44, v40
	v_fma_f32 v44, v35, s19, -v43
	v_fmac_f32_e32 v43, 0xbf7ba420, v35
	v_add_f32_e32 v43, v45, v43
	v_mul_f32_e32 v45, 0x3f763a35, v36
	v_add_f32_e32 v44, v46, v44
	;; [unrolled: 5-line block ×3, first 2 shown]
	v_fma_f32 v54, v35, s16, -v53
	v_fmac_f32_e32 v53, 0x3f6eb680, v35
	v_mul_f32_e32 v61, 0xbf65296c, v36
	v_add_f32_e32 v53, v65, v53
	v_fma_f32 v62, v35, s9, -v61
	v_fmac_f32_e32 v61, 0x3ee437d1, v35
	v_mul_f32_e32 v65, 0xbf06c442, v36
	v_add_f32_e32 v54, v66, v54
	v_add_f32_e32 v61, v69, v61
	v_fma_f32 v66, v35, s18, -v65
	v_fmac_f32_e32 v65, 0xbf59a7d5, v35
	v_mul_f32_e32 v69, 0x3f4c4adb, v36
	v_mul_f32_e32 v36, 0x3f2c7751, v36
	v_sub_f32_e32 v31, v31, v57
	v_add_f32_e32 v62, v70, v62
	v_add_f32_e32 v65, v71, v65
	v_fma_f32 v70, v35, s17, -v69
	v_fmac_f32_e32 v69, 0xbf1a4643, v35
	v_fma_f32 v71, v35, s14, -v36
	v_fmac_f32_e32 v36, 0x3f3d2fb0, v35
	v_add_f32_e32 v32, v58, v32
	v_mul_f32_e32 v35, 0xbf763a35, v31
	v_add_f32_e32 v13, v13, v36
	v_fma_f32 v36, v32, s15, -v35
	v_fmac_f32_e32 v35, 0xbe8c1d8e, v32
	v_add_f32_e32 v35, v39, v35
	v_mul_f32_e32 v39, 0x3f06c442, v31
	v_add_f32_e32 v36, v40, v36
	;; [unrolled: 5-line block ×5, first 2 shown]
	v_fma_f32 v54, v32, s19, -v53
	v_fmac_f32_e32 v53, 0xbf7ba420, v32
	v_mul_f32_e32 v57, 0x3f7ee86f, v31
	v_add_f32_e32 v53, v61, v53
	v_fma_f32 v58, v32, s8, -v57
	v_fmac_f32_e32 v57, 0x3dbcf732, v32
	v_mul_f32_e32 v61, 0xbeb8f4ab, v31
	v_mul_f32_e32 v31, 0xbf4c4adb, v31
	v_add_f32_e32 v57, v65, v57
	v_fma_f32 v65, v32, s17, -v31
	v_fmac_f32_e32 v31, 0xbf1a4643, v32
	v_sub_f32_e32 v21, v21, v47
	v_add_f32_e32 v13, v13, v31
	v_add_f32_e32 v22, v22, v48
	v_mul_f32_e32 v31, 0xbf4c4adb, v21
	v_add_f32_e32 v54, v62, v54
	v_fma_f32 v62, v32, s16, -v61
	v_fmac_f32_e32 v61, 0x3f6eb680, v32
	v_fma_f32 v32, v22, s17, -v31
	v_fmac_f32_e32 v31, 0xbf1a4643, v22
	v_add_f32_e32 v31, v31, v35
	v_mul_f32_e32 v35, 0x3f763a35, v21
	v_add_f32_e32 v32, v32, v36
	v_fma_f32 v36, v22, s15, -v35
	v_fmac_f32_e32 v35, 0xbe8c1d8e, v22
	v_add_f32_e32 v35, v35, v39
	v_mul_f32_e32 v39, 0xbeb8f4ab, v21
	v_add_f32_e32 v36, v36, v40
	;; [unrolled: 5-line block ×4, first 2 shown]
	v_fma_f32 v46, v22, s8, -v45
	v_fmac_f32_e32 v45, 0x3dbcf732, v22
	v_mul_f32_e32 v47, 0xbf2c7751, v21
	v_add_f32_e32 v45, v45, v53
	v_fma_f32 v48, v22, s14, -v47
	v_fmac_f32_e32 v47, 0x3f3d2fb0, v22
	v_mul_f32_e32 v53, 0xbe3c28d5, v21
	v_mul_f32_e32 v21, 0x3f65296c, v21
	v_add_f32_e32 v47, v47, v57
	v_fma_f32 v57, v22, s9, -v21
	v_fmac_f32_e32 v21, 0x3ee437d1, v22
	v_sub_f32_e32 v11, v11, v41
	v_add_f32_e32 v13, v21, v13
	v_add_f32_e32 v12, v42, v12
	v_mul_f32_e32 v21, 0xbf06c442, v11
	v_add_f32_e32 v46, v46, v54
	v_fma_f32 v54, v22, s19, -v53
	v_fmac_f32_e32 v53, 0xbf7ba420, v22
	v_fma_f32 v22, v12, s18, -v21
	v_fmac_f32_e32 v21, 0xbf59a7d5, v12
	v_add_f32_e32 v21, v31, v21
	v_mul_f32_e32 v31, 0x3f65296c, v11
	v_add_f32_e32 v22, v32, v22
	v_fma_f32 v32, v12, s9, -v31
	v_fmac_f32_e32 v31, 0x3ee437d1, v12
	v_add_f32_e32 v31, v35, v31
	v_mul_f32_e32 v35, 0xbf7ee86f, v11
	v_add_f32_e32 v32, v36, v32
	;; [unrolled: 5-line block ×3, first 2 shown]
	v_fma_f32 v40, v12, s17, -v39
	v_fmac_f32_e32 v39, 0xbf1a4643, v12
	v_mul_f32_e32 v41, 0xbeb8f4ab, v11
	v_add_f32_e32 v39, v43, v39
	v_fma_f32 v42, v12, s16, -v41
	v_fmac_f32_e32 v41, 0x3f6eb680, v12
	v_mul_f32_e32 v43, 0xbe3c28d5, v11
	v_add_f32_e32 v40, v44, v40
	v_add_f32_e32 v41, v45, v41
	v_fma_f32 v44, v12, s19, -v43
	v_fmac_f32_e32 v43, 0xbf7ba420, v12
	v_mul_f32_e32 v45, 0x3f2c7751, v11
	v_mul_f32_e32 v11, 0xbf763a35, v11
	v_add_f32_e32 v80, v80, v84
	v_add_f32_e32 v83, v83, v87
	;; [unrolled: 1-line block ×3, first 2 shown]
	v_fma_f32 v47, v12, s15, -v11
	v_fmac_f32_e32 v11, 0xbe8c1d8e, v12
	v_add_f32_e32 v72, v72, v80
	v_add_f32_e32 v79, v79, v83
	;; [unrolled: 1-line block ×3, first 2 shown]
	v_sub_f32_e32 v13, v17, v25
	v_add_f32_e32 v82, v82, v86
	v_add_f32_e32 v66, v72, v66
	;; [unrolled: 1-line block ×4, first 2 shown]
	v_fma_f32 v46, v12, s14, -v45
	v_fmac_f32_e32 v45, 0x3f3d2fb0, v12
	v_add_f32_e32 v12, v18, v26
	v_mul_f32_e32 v17, 0xbe3c28d5, v13
	v_add_f32_e32 v81, v81, v85
	v_add_f32_e32 v78, v78, v82
	;; [unrolled: 1-line block ×4, first 2 shown]
	v_fma_f32 v18, v12, s19, -v17
	v_fmac_f32_e32 v17, 0xbf7ba420, v12
	v_add_f32_e32 v77, v77, v81
	v_add_f32_e32 v70, v78, v70
	;; [unrolled: 1-line block ×5, first 2 shown]
	v_mul_f32_e32 v17, 0x3eb8f4ab, v13
	v_add_f32_e32 v69, v77, v69
	v_add_f32_e32 v62, v70, v62
	v_add_f32_e32 v47, v57, v47
	v_add_f32_e32 v57, v18, v22
	v_fma_f32 v18, v12, s16, -v17
	v_fmac_f32_e32 v17, 0x3f6eb680, v12
	v_add_f32_e32 v61, v69, v61
	v_add_f32_e32 v54, v54, v62
	;; [unrolled: 1-line block ×3, first 2 shown]
	v_mul_f32_e32 v17, 0xbf06c442, v13
	v_add_f32_e32 v53, v53, v61
	v_add_f32_e32 v61, v18, v32
	v_fma_f32 v18, v12, s18, -v17
	v_fmac_f32_e32 v17, 0xbf59a7d5, v12
	v_add_f32_e32 v66, v17, v35
	v_mul_f32_e32 v17, 0x3f2c7751, v13
	v_add_f32_e32 v65, v18, v36
	v_fma_f32 v18, v12, s14, -v17
	v_fmac_f32_e32 v17, 0x3f3d2fb0, v12
	v_add_f32_e32 v70, v17, v39
	v_mul_f32_e32 v17, 0xbf4c4adb, v13
	;; [unrolled: 5-line block ×3, first 2 shown]
	v_add_f32_e32 v71, v18, v42
	v_fma_f32 v18, v12, s9, -v17
	v_fmac_f32_e32 v17, 0x3ee437d1, v12
	v_add_f32_e32 v44, v48, v44
	v_add_f32_e32 v78, v17, v43
	v_mul_f32_e32 v17, 0xbf763a35, v13
	v_add_f32_e32 v45, v53, v45
	v_add_f32_e32 v77, v18, v44
	v_fma_f32 v18, v12, s15, -v17
	v_fmac_f32_e32 v17, 0xbe8c1d8e, v12
	v_mul_f32_e32 v13, 0x3f7ee86f, v13
	v_add_f32_e32 v80, v17, v45
	v_fma_f32 v17, v12, s8, -v13
	v_fmac_f32_e32 v13, 0x3dbcf732, v12
	v_add_f32_e32 v82, v13, v11
	v_lshlrev_b32_e32 v11, 2, v74
	v_add3_u32 v48, 0, v11, v0
	v_add_f32_e32 v46, v54, v46
	v_add_f32_e32 v81, v17, v47
	v_add3_u32 v47, 0, v0, v11
	v_add_u32_e32 v53, 0x200, v48
	v_add_u32_e32 v13, 0x400, v48
	v_add_f32_e32 v79, v18, v46
	s_waitcnt lgkmcnt(0)
	s_barrier
	ds_read_b32 v54, v47
	ds_read2_b32 v[45:46], v48 offset0:119 offset1:136
	ds_read2_b32 v[25:26], v48 offset0:221 offset1:238
	;; [unrolled: 1-line block ×10, first 2 shown]
	s_waitcnt lgkmcnt(0)
	s_barrier
	ds_write2_b32 v75, v76, v57 offset1:1
	ds_write2_b32 v75, v61, v65 offset0:2 offset1:3
	ds_write2_b32 v75, v69, v71 offset0:4 offset1:5
	;; [unrolled: 1-line block ×7, first 2 shown]
	ds_write_b32 v75, v58 offset:64
	s_and_saveexec_b64 s[6:7], s[0:1]
	s_cbranch_execz .LBB0_18
; %bb.17:
	v_add_f32_e32 v57, v14, v50
	v_add_f32_e32 v57, v57, v38
	;; [unrolled: 1-line block ×15, first 2 shown]
	v_sub_f32_e32 v49, v49, v67
	v_add_f32_e32 v57, v68, v57
	v_add_f32_e32 v50, v50, v68
	v_mul_f32_e32 v58, 0xbeb8f4ab, v49
	s_mov_b32 s14, 0x3f6eb680
	v_mul_f32_e32 v62, 0xbf2c7751, v49
	s_mov_b32 s8, 0x3f3d2fb0
	v_mul_f32_e32 v66, 0xbf65296c, v49
	s_mov_b32 s1, 0x3ee437d1
	v_mul_f32_e32 v68, 0xbf7ee86f, v49
	s_mov_b32 s0, 0x3dbcf732
	v_mul_f32_e32 v70, 0xbf763a35, v49
	s_mov_b32 s9, 0xbe8c1d8e
	v_mul_f32_e32 v72, 0xbf4c4adb, v49
	s_mov_b32 s15, 0xbf1a4643
	v_mul_f32_e32 v76, 0xbf06c442, v49
	s_mov_b32 s16, 0xbf59a7d5
	v_mul_f32_e32 v49, 0xbe3c28d5, v49
	s_mov_b32 s17, 0xbf7ba420
	v_fma_f32 v61, v50, s14, -v58
	v_fmac_f32_e32 v58, 0x3f6eb680, v50
	v_fma_f32 v65, v50, s8, -v62
	v_fmac_f32_e32 v62, 0x3f3d2fb0, v50
	;; [unrolled: 2-line block ×8, first 2 shown]
	v_sub_f32_e32 v37, v37, v63
	v_add_f32_e32 v61, v14, v61
	v_add_f32_e32 v58, v14, v58
	v_add_f32_e32 v65, v14, v65
	v_add_f32_e32 v62, v14, v62
	v_add_f32_e32 v67, v14, v67
	v_add_f32_e32 v66, v14, v66
	v_add_f32_e32 v69, v14, v69
	v_add_f32_e32 v68, v14, v68
	v_add_f32_e32 v71, v14, v71
	v_add_f32_e32 v70, v14, v70
	v_add_f32_e32 v75, v14, v75
	v_add_f32_e32 v72, v14, v72
	v_add_f32_e32 v77, v14, v77
	v_add_f32_e32 v76, v14, v76
	v_add_f32_e32 v78, v14, v78
	v_add_f32_e32 v14, v14, v49
	v_add_f32_e32 v38, v38, v64
	v_mul_f32_e32 v49, 0xbf2c7751, v37
	v_fma_f32 v50, v38, s8, -v49
	v_fmac_f32_e32 v49, 0x3f3d2fb0, v38
	v_add_f32_e32 v49, v58, v49
	v_mul_f32_e32 v58, 0xbf7ee86f, v37
	v_add_f32_e32 v50, v61, v50
	v_fma_f32 v61, v38, s0, -v58
	v_fmac_f32_e32 v58, 0x3dbcf732, v38
	v_add_f32_e32 v58, v62, v58
	v_mul_f32_e32 v62, 0xbf4c4adb, v37
	v_fma_f32 v63, v38, s15, -v62
	v_fmac_f32_e32 v62, 0xbf1a4643, v38
	v_mul_f32_e32 v64, 0xbe3c28d5, v37
	v_add_f32_e32 v61, v65, v61
	v_add_f32_e32 v62, v66, v62
	v_fma_f32 v65, v38, s17, -v64
	v_fmac_f32_e32 v64, 0xbf7ba420, v38
	v_mul_f32_e32 v66, 0x3f06c442, v37
	v_add_f32_e32 v63, v67, v63
	v_add_f32_e32 v64, v68, v64
	;; [unrolled: 5-line block ×3, first 2 shown]
	v_fma_f32 v69, v38, s9, -v68
	v_fmac_f32_e32 v68, 0xbe8c1d8e, v38
	v_mul_f32_e32 v70, 0x3f65296c, v37
	v_mul_f32_e32 v37, 0x3eb8f4ab, v37
	v_add_f32_e32 v68, v72, v68
	v_fma_f32 v72, v38, s14, -v37
	v_fmac_f32_e32 v37, 0x3f6eb680, v38
	v_sub_f32_e32 v27, v27, v59
	v_add_f32_e32 v14, v14, v37
	v_add_f32_e32 v28, v28, v60
	v_mul_f32_e32 v37, 0xbf65296c, v27
	v_add_f32_e32 v67, v71, v67
	v_fma_f32 v71, v38, s1, -v70
	v_fmac_f32_e32 v70, 0x3ee437d1, v38
	v_fma_f32 v38, v28, s1, -v37
	v_fmac_f32_e32 v37, 0x3ee437d1, v28
	v_add_f32_e32 v37, v49, v37
	v_mul_f32_e32 v49, 0xbf4c4adb, v27
	v_add_f32_e32 v38, v50, v38
	v_fma_f32 v50, v28, s15, -v49
	v_fmac_f32_e32 v49, 0xbf1a4643, v28
	v_add_f32_e32 v49, v58, v49
	v_mul_f32_e32 v58, 0x3e3c28d5, v27
	v_fma_f32 v59, v28, s17, -v58
	v_fmac_f32_e32 v58, 0xbf7ba420, v28
	v_mul_f32_e32 v60, 0x3f763a35, v27
	v_add_f32_e32 v50, v61, v50
	v_add_f32_e32 v58, v62, v58
	v_fma_f32 v61, v28, s9, -v60
	v_fmac_f32_e32 v60, 0xbe8c1d8e, v28
	v_mul_f32_e32 v62, 0x3f2c7751, v27
	v_add_f32_e32 v59, v63, v59
	v_add_f32_e32 v60, v64, v60
	;; [unrolled: 5-line block ×3, first 2 shown]
	v_fma_f32 v65, v28, s14, -v64
	v_fmac_f32_e32 v64, 0x3f6eb680, v28
	v_mul_f32_e32 v66, 0xbf7ee86f, v27
	v_mul_f32_e32 v27, 0xbf06c442, v27
	v_add_f32_e32 v63, v67, v63
	v_add_f32_e32 v64, v68, v64
	v_fma_f32 v67, v28, s0, -v66
	v_fmac_f32_e32 v66, 0x3dbcf732, v28
	v_fma_f32 v68, v28, s16, -v27
	v_fmac_f32_e32 v27, 0xbf59a7d5, v28
	v_sub_f32_e32 v28, v33, v55
	v_add_f32_e32 v14, v14, v27
	v_add_f32_e32 v27, v34, v56
	v_mul_f32_e32 v33, 0xbf7ee86f, v28
	v_fma_f32 v34, v27, s0, -v33
	v_fmac_f32_e32 v33, 0x3dbcf732, v27
	v_add_f32_e32 v33, v37, v33
	v_mul_f32_e32 v37, 0xbe3c28d5, v28
	v_add_f32_e32 v34, v38, v34
	v_fma_f32 v38, v27, s17, -v37
	v_fmac_f32_e32 v37, 0xbf7ba420, v27
	v_add_f32_e32 v37, v49, v37
	v_mul_f32_e32 v49, 0x3f763a35, v28
	v_add_f32_e32 v38, v50, v38
	v_fma_f32 v50, v27, s9, -v49
	v_fmac_f32_e32 v49, 0xbe8c1d8e, v27
	v_mul_f32_e32 v55, 0x3eb8f4ab, v28
	v_add_f32_e32 v49, v58, v49
	v_fma_f32 v56, v27, s14, -v55
	v_fmac_f32_e32 v55, 0x3f6eb680, v27
	v_mul_f32_e32 v58, 0xbf65296c, v28
	v_add_f32_e32 v50, v59, v50
	v_add_f32_e32 v55, v60, v55
	v_fma_f32 v59, v27, s1, -v58
	v_fmac_f32_e32 v58, 0x3ee437d1, v27
	v_mul_f32_e32 v60, 0xbf06c442, v28
	v_add_f32_e32 v56, v61, v56
	v_add_f32_e32 v58, v62, v58
	v_fma_f32 v61, v27, s16, -v60
	v_fmac_f32_e32 v60, 0xbf59a7d5, v27
	v_mul_f32_e32 v62, 0x3f4c4adb, v28
	v_mul_f32_e32 v28, 0x3f2c7751, v28
	v_sub_f32_e32 v23, v23, v51
	v_add_f32_e32 v59, v63, v59
	v_add_f32_e32 v60, v64, v60
	v_fma_f32 v63, v27, s15, -v62
	v_fmac_f32_e32 v62, 0xbf1a4643, v27
	v_fma_f32 v64, v27, s8, -v28
	v_fmac_f32_e32 v28, 0x3f3d2fb0, v27
	v_add_f32_e32 v24, v24, v52
	v_mul_f32_e32 v27, 0xbf763a35, v23
	v_add_f32_e32 v14, v14, v28
	v_fma_f32 v28, v24, s9, -v27
	v_fmac_f32_e32 v27, 0xbe8c1d8e, v24
	v_add_f32_e32 v27, v33, v27
	v_mul_f32_e32 v33, 0x3f06c442, v23
	v_add_f32_e32 v28, v34, v28
	;; [unrolled: 5-line block ×4, first 2 shown]
	v_fma_f32 v50, v24, s1, -v49
	v_fmac_f32_e32 v49, 0x3ee437d1, v24
	v_mul_f32_e32 v51, 0xbe3c28d5, v23
	v_add_f32_e32 v49, v55, v49
	v_fma_f32 v52, v24, s17, -v51
	v_fmac_f32_e32 v51, 0xbf7ba420, v24
	v_mul_f32_e32 v55, 0x3f7ee86f, v23
	v_add_f32_e32 v50, v56, v50
	v_add_f32_e32 v51, v58, v51
	v_fma_f32 v56, v24, s0, -v55
	v_fmac_f32_e32 v55, 0x3dbcf732, v24
	v_mul_f32_e32 v58, 0xbeb8f4ab, v23
	v_mul_f32_e32 v23, 0xbf4c4adb, v23
	v_add_f32_e32 v55, v60, v55
	v_fma_f32 v60, v24, s15, -v23
	v_fmac_f32_e32 v23, 0xbf1a4643, v24
	v_sub_f32_e32 v15, v15, v29
	v_add_f32_e32 v14, v14, v23
	v_add_f32_e32 v16, v16, v30
	v_mul_f32_e32 v23, 0xbf4c4adb, v15
	v_add_f32_e32 v52, v59, v52
	v_fma_f32 v59, v24, s14, -v58
	v_fmac_f32_e32 v58, 0x3f6eb680, v24
	v_fma_f32 v24, v16, s15, -v23
	v_fmac_f32_e32 v23, 0xbf1a4643, v16
	v_add_f32_e32 v23, v27, v23
	v_mul_f32_e32 v27, 0x3f763a35, v15
	v_add_f32_e32 v24, v28, v24
	v_fma_f32 v28, v16, s9, -v27
	v_fmac_f32_e32 v27, 0xbe8c1d8e, v16
	v_mul_f32_e32 v29, 0xbeb8f4ab, v15
	v_add_f32_e32 v27, v33, v27
	v_fma_f32 v30, v16, s14, -v29
	v_fmac_f32_e32 v29, 0x3f6eb680, v16
	v_mul_f32_e32 v33, 0xbf06c442, v15
	v_add_f32_e32 v28, v34, v28
	v_add_f32_e32 v29, v37, v29
	v_fma_f32 v34, v16, s16, -v33
	v_fmac_f32_e32 v33, 0xbf59a7d5, v16
	v_mul_f32_e32 v37, 0x3f7ee86f, v15
	v_add_f32_e32 v30, v38, v30
	;; [unrolled: 5-line block ×3, first 2 shown]
	v_add_f32_e32 v37, v51, v37
	v_fma_f32 v50, v16, s8, -v49
	v_fmac_f32_e32 v49, 0x3f3d2fb0, v16
	v_mul_f32_e32 v51, 0xbe3c28d5, v15
	v_mul_f32_e32 v15, 0x3f65296c, v15
	v_add_f32_e32 v49, v55, v49
	v_fma_f32 v55, v16, s1, -v15
	v_fmac_f32_e32 v15, 0x3ee437d1, v16
	v_sub_f32_e32 v7, v7, v19
	v_add_f32_e32 v14, v14, v15
	v_add_f32_e32 v8, v8, v20
	v_mul_f32_e32 v15, 0xbf06c442, v7
	v_add_f32_e32 v38, v52, v38
	v_fma_f32 v52, v16, s17, -v51
	v_fmac_f32_e32 v51, 0xbf7ba420, v16
	v_fma_f32 v16, v8, s16, -v15
	v_fmac_f32_e32 v15, 0xbf59a7d5, v8
	v_mul_f32_e32 v19, 0x3f65296c, v7
	v_add_f32_e32 v15, v23, v15
	v_fma_f32 v20, v8, s1, -v19
	v_fmac_f32_e32 v19, 0x3ee437d1, v8
	v_mul_f32_e32 v23, 0xbf7ee86f, v7
	v_add_f32_e32 v16, v24, v16
	v_add_f32_e32 v19, v27, v19
	v_fma_f32 v24, v8, s0, -v23
	v_fmac_f32_e32 v23, 0x3dbcf732, v8
	v_mul_f32_e32 v27, 0x3f4c4adb, v7
	v_add_f32_e32 v20, v28, v20
	;; [unrolled: 5-line block ×4, first 2 shown]
	v_add_f32_e32 v29, v37, v29
	v_fma_f32 v34, v8, s17, -v33
	v_fmac_f32_e32 v33, 0xbf7ba420, v8
	v_mul_f32_e32 v37, 0x3f2c7751, v7
	v_mul_f32_e32 v7, 0xbf763a35, v7
	v_sub_f32_e32 v5, v9, v5
	v_add_f32_e32 v30, v38, v30
	v_add_f32_e32 v33, v49, v33
	v_fma_f32 v38, v8, s8, -v37
	v_fmac_f32_e32 v37, 0x3f3d2fb0, v8
	v_fma_f32 v49, v8, s9, -v7
	v_fmac_f32_e32 v7, 0xbe8c1d8e, v8
	v_add_f32_e32 v6, v10, v6
	v_mul_f32_e32 v8, 0xbe3c28d5, v5
	v_fma_f32 v9, v6, s17, -v8
	v_fmac_f32_e32 v8, 0xbf7ba420, v6
	v_mul_f32_e32 v10, 0x3eb8f4ab, v5
	v_add_f32_e32 v7, v14, v7
	v_add_f32_e32 v8, v15, v8
	v_fma_f32 v14, v6, s14, -v10
	v_fmac_f32_e32 v10, 0x3f6eb680, v6
	v_mul_f32_e32 v15, 0xbf06c442, v5
	v_add_f32_e32 v69, v75, v69
	v_add_f32_e32 v71, v77, v71
	v_add_f32_e32 v70, v76, v70
	v_add_f32_e32 v72, v78, v72
	v_add_f32_e32 v9, v16, v9
	v_add_f32_e32 v10, v19, v10
	v_fma_f32 v16, v6, s16, -v15
	v_fmac_f32_e32 v15, 0xbf59a7d5, v6
	v_mul_f32_e32 v19, 0x3f2c7751, v5
	v_add_f32_e32 v65, v69, v65
	v_add_f32_e32 v67, v71, v67
	v_add_f32_e32 v66, v70, v66
	v_add_f32_e32 v68, v72, v68
	;; [unrolled: 9-line block ×4, first 2 shown]
	v_add_f32_e32 v20, v28, v20
	v_add_f32_e32 v23, v29, v23
	v_fma_f32 v28, v6, s1, -v27
	v_fmac_f32_e32 v27, 0x3ee437d1, v6
	v_mul_f32_e32 v29, 0xbf763a35, v5
	v_mul_f32_e32 v5, 0x3f7ee86f, v5
	v_add_f32_e32 v50, v56, v50
	v_add_f32_e32 v52, v59, v52
	;; [unrolled: 1-line block ×6, first 2 shown]
	v_fma_f32 v30, v6, s9, -v29
	v_fmac_f32_e32 v29, 0xbe8c1d8e, v6
	v_fma_f32 v33, v6, s0, -v5
	v_fmac_f32_e32 v5, 0x3dbcf732, v6
	v_mul_u32_u24_e32 v6, 0x44, v73
	v_add_f32_e32 v34, v50, v34
	v_add_f32_e32 v38, v52, v38
	;; [unrolled: 1-line block ×4, first 2 shown]
	v_add3_u32 v6, 0, v6, v0
	v_add_f32_e32 v28, v34, v28
	v_add_f32_e32 v30, v38, v30
	;; [unrolled: 1-line block ×5, first 2 shown]
	ds_write2_b32 v6, v57, v9 offset1:1
	ds_write2_b32 v6, v14, v16 offset0:2 offset1:3
	ds_write2_b32 v6, v20, v24 offset0:4 offset1:5
	;; [unrolled: 1-line block ×7, first 2 shown]
	ds_write_b32 v6, v8 offset:64
.LBB0_18:
	s_or_b64 exec, exec, s[6:7]
	v_lshlrev_b32_e32 v5, 1, v74
	v_mov_b32_e32 v6, 0
	v_lshlrev_b64 v[7:8], 3, v[5:6]
	v_mov_b32_e32 v5, s13
	v_add_co_u32_e64 v7, s[0:1], s12, v7
	v_addc_co_u32_e64 v8, s[0:1], v5, v8, s[0:1]
	v_add_u32_e32 v5, 34, v74
	s_movk_i32 s0, 0xf1
	v_mul_lo_u16_sdwa v14, v5, s0 dst_sel:DWORD dst_unused:UNUSED_PAD src0_sel:BYTE_0 src1_sel:DWORD
	v_lshrrev_b16_e32 v14, 12, v14
	v_mul_lo_u16_e32 v14, 17, v14
	v_sub_u16_e32 v16, v5, v14
	v_mov_b32_e32 v14, 4
	v_lshlrev_b32_sdwa v15, v14, v16 dst_sel:DWORD dst_unused:UNUSED_PAD src0_sel:DWORD src1_sel:BYTE_0
	s_waitcnt lgkmcnt(0)
	s_barrier
	global_load_dwordx4 v[27:30], v15, s[12:13]
	v_add_u16_e32 v15, 51, v74
	v_mul_lo_u16_sdwa v19, v15, s0 dst_sel:DWORD dst_unused:UNUSED_PAD src0_sel:BYTE_0 src1_sel:DWORD
	v_lshrrev_b16_e32 v19, 12, v19
	v_mul_lo_u16_e32 v19, 17, v19
	v_sub_u16_e32 v73, v15, v19
	v_lshlrev_b32_sdwa v15, v14, v73 dst_sel:DWORD dst_unused:UNUSED_PAD src0_sel:DWORD src1_sel:BYTE_0
	global_load_dwordx4 v[49:52], v15, s[12:13]
	v_add_u16_e32 v15, 0x44, v74
	v_mul_lo_u16_sdwa v19, v15, s0 dst_sel:DWORD dst_unused:UNUSED_PAD src0_sel:BYTE_0 src1_sel:DWORD
	v_lshrrev_b16_e32 v19, 12, v19
	v_mul_lo_u16_e32 v19, 17, v19
	global_load_dwordx4 v[7:10], v[7:8], off
	v_sub_u16_e32 v79, v15, v19
	v_lshlrev_b32_sdwa v15, v14, v79 dst_sel:DWORD dst_unused:UNUSED_PAD src0_sel:DWORD src1_sel:BYTE_0
	global_load_dwordx4 v[55:58], v15, s[12:13]
	v_add_u16_e32 v15, 0x55, v74
	v_mul_lo_u16_sdwa v19, v15, s0 dst_sel:DWORD dst_unused:UNUSED_PAD src0_sel:BYTE_0 src1_sel:DWORD
	v_lshrrev_b16_e32 v19, 12, v19
	v_mul_lo_u16_e32 v19, 17, v19
	v_sub_u16_e32 v80, v15, v19
	v_lshlrev_b32_sdwa v15, v14, v80 dst_sel:DWORD dst_unused:UNUSED_PAD src0_sel:DWORD src1_sel:BYTE_0
	global_load_dwordx4 v[59:62], v15, s[12:13]
	v_add_u16_e32 v15, 0x66, v74
	v_mul_lo_u16_sdwa v19, v15, s0 dst_sel:DWORD dst_unused:UNUSED_PAD src0_sel:BYTE_0 src1_sel:DWORD
	v_lshrrev_b16_e32 v19, 12, v19
	v_mul_lo_u16_e32 v19, 17, v19
	v_sub_u16_e32 v81, v15, v19
	v_lshlrev_b32_sdwa v14, v14, v81 dst_sel:DWORD dst_unused:UNUSED_PAD src0_sel:DWORD src1_sel:BYTE_0
	global_load_dwordx4 v[63:66], v14, s[12:13]
	ds_read_b32 v82, v47
	ds_read2_b32 v[14:15], v48 offset0:119 offset1:136
	ds_read2_b32 v[19:20], v48 offset0:221 offset1:238
	;; [unrolled: 1-line block ×10, first 2 shown]
	s_waitcnt vmcnt(0) lgkmcnt(0)
	s_barrier
	v_mul_f32_e32 v83, v14, v8
	v_mul_f32_e32 v84, v45, v8
	;; [unrolled: 1-line block ×8, first 2 shown]
	v_fmac_f32_e32 v83, v45, v7
	v_fma_f32 v14, v14, v7, -v84
	v_fmac_f32_e32 v87, v46, v7
	v_fma_f32 v7, v15, v7, -v8
	v_fma_f32 v8, v23, v9, -v10
	v_mul_f32_e32 v10, v41, v28
	v_fmac_f32_e32 v85, v26, v9
	v_fma_f32 v20, v20, v9, -v86
	v_fmac_f32_e32 v88, v43, v9
	v_mul_f32_e32 v9, v33, v28
	v_mul_f32_e32 v23, v44, v30
	;; [unrolled: 1-line block ×3, first 2 shown]
	v_fma_f32 v10, v33, v27, -v10
	v_mul_f32_e32 v33, v38, v58
	v_mul_f32_e32 v15, v24, v30
	;; [unrolled: 1-line block ×3, first 2 shown]
	v_fmac_f32_e32 v9, v41, v27
	v_fma_f32 v23, v24, v29, -v23
	v_fma_f32 v24, v34, v49, -v28
	v_mul_f32_e32 v27, v37, v52
	v_fmac_f32_e32 v33, v40, v57
	v_mul_f32_e32 v34, v40, v58
	v_add_f32_e32 v40, v83, v85
	v_fmac_f32_e32 v27, v39, v51
	v_mul_f32_e32 v28, v39, v52
	v_add_f32_e32 v39, v54, v83
	v_fmac_f32_e32 v54, -0.5, v40
	v_sub_f32_e32 v40, v14, v20
	v_mov_b32_e32 v41, v54
	v_fmac_f32_e32 v41, 0xbf5db3d7, v40
	v_fmac_f32_e32 v54, 0x3f5db3d7, v40
	v_add_f32_e32 v40, v82, v14
	v_add_f32_e32 v14, v14, v20
	v_fmac_f32_e32 v26, v42, v49
	v_add_f32_e32 v42, v40, v20
	v_fmac_f32_e32 v82, -0.5, v14
	v_add_f32_e32 v20, v87, v88
	v_sub_f32_e32 v14, v83, v85
	v_mov_b32_e32 v43, v82
	v_fma_f32 v20, -0.5, v20, v21
	v_fmac_f32_e32 v43, 0x3f5db3d7, v14
	v_fmac_f32_e32 v82, 0xbf5db3d7, v14
	v_add_f32_e32 v14, v21, v87
	v_sub_f32_e32 v21, v7, v8
	v_mov_b32_e32 v40, v20
	v_fmac_f32_e32 v40, 0xbf5db3d7, v21
	v_fmac_f32_e32 v20, 0x3f5db3d7, v21
	v_add_f32_e32 v21, v67, v7
	v_add_f32_e32 v7, v7, v8
	v_fmac_f32_e32 v15, v44, v29
	v_fma_f32 v7, -0.5, v7, v67
	v_add_f32_e32 v44, v21, v8
	v_sub_f32_e32 v8, v87, v88
	v_mov_b32_e32 v45, v7
	v_add_f32_e32 v21, v9, v15
	v_fmac_f32_e32 v45, 0x3f5db3d7, v8
	v_fmac_f32_e32 v7, 0xbf5db3d7, v8
	v_add_f32_e32 v8, v22, v9
	v_fmac_f32_e32 v22, -0.5, v21
	v_sub_f32_e32 v21, v10, v23
	v_mov_b32_e32 v46, v22
	v_fmac_f32_e32 v46, 0xbf5db3d7, v21
	v_fmac_f32_e32 v22, 0x3f5db3d7, v21
	v_add_f32_e32 v21, v68, v10
	v_add_f32_e32 v10, v10, v23
	v_fma_f32 v28, v37, v51, -v28
	v_add_f32_e32 v8, v8, v15
	v_fmac_f32_e32 v68, -0.5, v10
	v_sub_f32_e32 v9, v9, v15
	v_add_f32_e32 v15, v26, v27
	v_mul_f32_e32 v29, v71, v56
	v_add_f32_e32 v49, v21, v23
	v_mov_b32_e32 v10, v68
	v_fma_f32 v15, -0.5, v15, v17
	v_add_f32_e32 v23, v24, v28
	v_fmac_f32_e32 v29, v35, v55
	v_fmac_f32_e32 v10, 0x3f5db3d7, v9
	;; [unrolled: 1-line block ×3, first 2 shown]
	v_add_f32_e32 v9, v17, v26
	v_sub_f32_e32 v17, v24, v28
	v_mov_b32_e32 v21, v15
	v_fma_f32 v50, -0.5, v23, v69
	v_mul_f32_e32 v30, v35, v56
	v_fmac_f32_e32 v21, 0xbf5db3d7, v17
	v_fmac_f32_e32 v15, 0x3f5db3d7, v17
	v_add_f32_e32 v17, v69, v24
	v_sub_f32_e32 v23, v26, v27
	v_mov_b32_e32 v51, v50
	v_add_f32_e32 v24, v29, v33
	v_fma_f32 v30, v71, v55, -v30
	v_fma_f32 v34, v38, v57, -v34
	v_fmac_f32_e32 v51, 0x3f5db3d7, v23
	v_fmac_f32_e32 v50, 0xbf5db3d7, v23
	v_add_f32_e32 v23, v18, v29
	v_fmac_f32_e32 v18, -0.5, v24
	v_sub_f32_e32 v24, v30, v34
	v_mov_b32_e32 v26, v18
	v_fmac_f32_e32 v26, 0xbf5db3d7, v24
	v_fmac_f32_e32 v18, 0x3f5db3d7, v24
	v_add_f32_e32 v24, v70, v30
	v_mul_f32_e32 v35, v72, v60
	v_mul_f32_e32 v37, v77, v62
	v_add_f32_e32 v52, v24, v34
	v_add_f32_e32 v24, v30, v34
	v_fmac_f32_e32 v35, v36, v59
	v_fmac_f32_e32 v37, v31, v61
	v_fmac_f32_e32 v70, -0.5, v24
	v_mul_f32_e32 v36, v36, v60
	v_mul_f32_e32 v31, v31, v62
	v_add_f32_e32 v39, v39, v85
	v_add_f32_e32 v14, v14, v88
	;; [unrolled: 1-line block ×3, first 2 shown]
	v_sub_f32_e32 v24, v29, v33
	v_mov_b32_e32 v55, v70
	v_add_f32_e32 v27, v35, v37
	v_fma_f32 v36, v72, v59, -v36
	v_fma_f32 v31, v77, v61, -v31
	v_fmac_f32_e32 v55, 0x3f5db3d7, v24
	v_fmac_f32_e32 v70, 0xbf5db3d7, v24
	v_add_f32_e32 v24, v11, v35
	v_fma_f32 v11, -0.5, v27, v11
	ds_write2_b32 v48, v39, v41 offset1:17
	ds_write2_b32 v48, v54, v14 offset0:34 offset1:51
	ds_write2_b32 v48, v40, v20 offset0:68 offset1:85
	v_mov_b32_e32 v14, 2
	v_mul_f32_e32 v38, v19, v64
	v_add_f32_e32 v17, v17, v28
	v_sub_f32_e32 v27, v36, v31
	v_mov_b32_e32 v28, v11
	v_lshlrev_b32_sdwa v16, v14, v16 dst_sel:DWORD dst_unused:UNUSED_PAD src0_sel:DWORD src1_sel:BYTE_0
	v_fmac_f32_e32 v38, v25, v63
	v_mul_f32_e32 v25, v25, v64
	v_fmac_f32_e32 v28, 0xbf5db3d7, v27
	v_fmac_f32_e32 v11, 0x3f5db3d7, v27
	v_add_f32_e32 v27, v75, v36
	v_add3_u32 v16, 0, v16, v0
	v_fma_f32 v19, v19, v63, -v25
	v_mul_f32_e32 v25, v78, v66
	v_add_f32_e32 v56, v27, v31
	v_add_f32_e32 v27, v36, v31
	ds_write2_b32 v16, v8, v46 offset0:102 offset1:119
	ds_write_b32 v16, v22 offset:544
	v_lshlrev_b32_sdwa v8, v14, v73 dst_sel:DWORD dst_unused:UNUSED_PAD src0_sel:DWORD src1_sel:BYTE_0
	v_fmac_f32_e32 v25, v32, v65
	v_fma_f32 v31, -0.5, v27, v75
	v_add3_u32 v8, 0, v8, v0
	v_mul_f32_e32 v32, v32, v66
	v_sub_f32_e32 v27, v35, v37
	v_mov_b32_e32 v57, v31
	v_add_f32_e32 v29, v38, v25
	ds_write2_b32 v8, v9, v21 offset0:153 offset1:170
	ds_write_b32 v8, v15 offset:748
	v_lshlrev_b32_sdwa v9, v14, v79 dst_sel:DWORD dst_unused:UNUSED_PAD src0_sel:DWORD src1_sel:BYTE_0
	v_lshlrev_b32_sdwa v15, v14, v80 dst_sel:DWORD dst_unused:UNUSED_PAD src0_sel:DWORD src1_sel:BYTE_0
	v_fma_f32 v32, v78, v65, -v32
	v_add_f32_e32 v23, v23, v33
	v_fmac_f32_e32 v57, 0x3f5db3d7, v27
	v_fmac_f32_e32 v31, 0xbf5db3d7, v27
	v_add_f32_e32 v27, v12, v38
	v_fmac_f32_e32 v12, -0.5, v29
	v_add3_u32 v9, 0, v9, v0
	v_add3_u32 v15, 0, v15, v0
	v_add_f32_e32 v24, v24, v37
	v_sub_f32_e32 v29, v19, v32
	v_mov_b32_e32 v30, v12
	ds_write2_b32 v9, v23, v26 offset0:204 offset1:221
	ds_write_b32 v9, v18 offset:952
	v_add_u32_e32 v18, 0x200, v15
	v_fmac_f32_e32 v30, 0xbf5db3d7, v29
	v_fmac_f32_e32 v12, 0x3f5db3d7, v29
	v_add_f32_e32 v29, v76, v19
	v_add_f32_e32 v19, v19, v32
	ds_write2_b32 v18, v24, v28 offset0:127 offset1:144
	ds_write_b32 v15, v11 offset:1156
	v_lshlrev_b32_sdwa v11, v14, v81 dst_sel:DWORD dst_unused:UNUSED_PAD src0_sel:DWORD src1_sel:BYTE_0
	v_fmac_f32_e32 v76, -0.5, v19
	v_add3_u32 v11, 0, v11, v0
	v_add_f32_e32 v27, v27, v25
	v_add_f32_e32 v58, v29, v32
	v_sub_f32_e32 v19, v38, v25
	v_mov_b32_e32 v32, v76
	v_add_u32_e32 v14, 0x400, v11
	v_fmac_f32_e32 v32, 0x3f5db3d7, v19
	v_fmac_f32_e32 v76, 0xbf5db3d7, v19
	ds_write2_b32 v14, v27, v30 offset0:50 offset1:67
	ds_write_b32 v11, v12 offset:1360
	s_waitcnt lgkmcnt(0)
	s_barrier
	ds_read_b32 v0, v47
	ds_read2_b32 v[27:28], v48 offset0:51 offset1:68
	ds_read2_b32 v[19:20], v48 offset0:85 offset1:102
	;; [unrolled: 1-line block ×10, first 2 shown]
	s_waitcnt lgkmcnt(0)
	s_barrier
	ds_write2_b32 v48, v42, v43 offset1:17
	ds_write2_b32 v48, v82, v44 offset0:34 offset1:51
	ds_write2_b32 v48, v45, v7 offset0:68 offset1:85
	;; [unrolled: 1-line block ×3, first 2 shown]
	ds_write_b32 v16, v68 offset:544
	ds_write2_b32 v8, v17, v51 offset0:153 offset1:170
	ds_write_b32 v8, v50 offset:748
	ds_write2_b32 v9, v52, v55 offset0:204 offset1:221
	;; [unrolled: 2-line block ×4, first 2 shown]
	ds_write_b32 v11, v76 offset:1360
	s_waitcnt lgkmcnt(0)
	s_barrier
	s_and_saveexec_b64 s[0:1], vcc
	s_cbranch_execz .LBB0_20
; %bb.19:
	v_mul_u32_u24_e32 v7, 6, v5
	v_lshlrev_b32_e32 v15, 3, v7
	global_load_dwordx4 v[7:10], v15, s[12:13] offset:272
	global_load_dwordx4 v[11:14], v15, s[12:13] offset:304
	;; [unrolled: 1-line block ×3, first 2 shown]
	v_mul_lo_u32 v16, s4, v4
	v_mov_b32_e32 v4, 0xffffff9a
	v_mul_lo_u32 v15, s5, v3
	v_mad_u64_u32 v[17:18], s[0:1], s4, v3, 0
	v_add_u32_e32 v3, 0x400, v48
	v_mad_u32_u24 v5, v5, 6, v4
	ds_read2_b32 v[31:32], v48 offset0:85 offset1:102
	ds_read2_b32 v[45:46], v48 offset0:221 offset1:238
	;; [unrolled: 1-line block ×7, first 2 shown]
	v_lshlrev_b64 v[3:4], 3, v[5:6]
	v_mov_b32_e32 v49, s13
	v_add_co_u32_e32 v3, vcc, s12, v3
	v_addc_co_u32_e32 v4, vcc, v49, v4, vcc
	global_load_dwordx4 v[49:52], v[3:4], off offset:272
	global_load_dwordx4 v[53:56], v[3:4], off offset:304
	;; [unrolled: 1-line block ×3, first 2 shown]
	v_add3_u32 v18, v18, v16, v15
	s_mov_b32 s5, 0xbf3bfb3b
	s_mov_b32 s0, 0xbf5ff5aa
	;; [unrolled: 1-line block ×4, first 2 shown]
	ds_read2_b32 v[71:72], v48 offset0:153 offset1:170
	v_lshlrev_b64 v[17:18], 3, v[17:18]
	s_waitcnt vmcnt(5)
	v_mul_f32_e32 v3, v19, v7
	s_waitcnt vmcnt(4)
	v_mul_f32_e32 v4, v40, v13
	;; [unrolled: 2-line block ×3, first 2 shown]
	v_mul_f32_e32 v6, v23, v41
	v_mul_f32_e32 v15, v36, v9
	;; [unrolled: 1-line block ×5, first 2 shown]
	s_waitcnt lgkmcnt(7)
	v_fmac_f32_e32 v3, v31, v8
	s_waitcnt lgkmcnt(2)
	v_fmac_f32_e32 v4, v68, v14
	v_fmac_f32_e32 v5, v46, v44
	v_fmac_f32_e32 v6, v61, v42
	v_fmac_f32_e32 v15, v64, v10
	s_waitcnt lgkmcnt(1)
	v_fmac_f32_e32 v16, v69, v12
	v_mul_f32_e32 v40, v40, v14
	v_mul_f32_e32 v23, v23, v42
	;; [unrolled: 1-line block ×4, first 2 shown]
	v_fma_f32 v7, v31, v7, -v19
	v_fma_f32 v14, v64, v9, -v36
	v_sub_f32_e32 v19, v3, v4
	v_sub_f32_e32 v9, v5, v6
	v_add_f32_e32 v36, v3, v4
	v_add_f32_e32 v3, v5, v6
	;; [unrolled: 1-line block ×3, first 2 shown]
	v_fma_f32 v8, v68, v13, -v40
	v_fma_f32 v12, v61, v41, -v23
	v_fma_f32 v13, v46, v43, -v38
	v_fma_f32 v11, v69, v11, -v29
	v_sub_f32_e32 v23, v15, v16
	v_sub_f32_e32 v41, v3, v5
	v_add_f32_e32 v42, v36, v5
	v_add_f32_e32 v29, v7, v8
	v_add_f32_e32 v10, v13, v12
	v_add_f32_e32 v31, v14, v11
	v_sub_f32_e32 v6, v19, v9
	v_sub_f32_e32 v4, v9, v23
	v_add_f32_e32 v9, v9, v23
	v_sub_f32_e32 v40, v36, v3
	v_mul_f32_e32 v41, 0x3d64c772, v41
	v_add_f32_e32 v3, v3, v42
	v_sub_f32_e32 v16, v10, v31
	v_add_f32_e32 v38, v29, v31
	v_add_f32_e32 v44, v19, v9
	v_mov_b32_e32 v64, v41
	v_add_f32_e32 v9, v34, v3
	v_mul_f32_e32 v43, 0x3f08b237, v4
	v_mul_f32_e32 v16, 0x3d64c772, v16
	v_add_f32_e32 v4, v10, v38
	v_mul_f32_e32 v38, 0x3f4a47b2, v40
	v_fmac_f32_e32 v64, 0x3f4a47b2, v40
	v_mov_b32_e32 v40, v9
	v_sub_f32_e32 v15, v29, v10
	v_mov_b32_e32 v61, v16
	v_add_f32_e32 v10, v66, v4
	v_fmac_f32_e32 v40, 0xbf955555, v3
	v_sub_f32_e32 v7, v7, v8
	v_sub_f32_e32 v3, v13, v12
	;; [unrolled: 1-line block ×3, first 2 shown]
	v_mul_f32_e32 v46, 0x3f4a47b2, v15
	v_fmac_f32_e32 v61, 0x3f4a47b2, v15
	v_mov_b32_e32 v15, v10
	v_sub_f32_e32 v8, v7, v3
	v_sub_f32_e32 v12, v3, v11
	v_add_f32_e32 v3, v3, v11
	v_sub_f32_e32 v14, v23, v19
	v_sub_f32_e32 v23, v31, v29
	;; [unrolled: 1-line block ×3, first 2 shown]
	v_fmac_f32_e32 v15, 0xbf955555, v4
	v_mul_f32_e32 v12, 0x3f08b237, v12
	v_add_f32_e32 v13, v7, v3
	v_fma_f32 v5, v31, s5, -v38
	v_sub_f32_e32 v7, v11, v7
	v_mov_b32_e32 v42, v43
	v_add_f32_e32 v34, v61, v15
	v_add_f32_e32 v61, v64, v40
	v_mov_b32_e32 v64, v12
	v_mul_f32_e32 v19, 0xbf5ff5aa, v14
	v_add_f32_e32 v36, v5, v40
	v_mul_f32_e32 v5, 0xbf5ff5aa, v7
	v_fmac_f32_e32 v42, 0xbeae86e6, v6
	v_fmac_f32_e32 v64, 0xbeae86e6, v8
	v_fma_f32 v19, v6, s4, -v19
	v_fma_f32 v6, v23, s5, -v46
	;; [unrolled: 1-line block ×5, first 2 shown]
	v_fmac_f32_e32 v19, 0xbee1c552, v44
	v_add_f32_e32 v29, v6, v15
	v_add_f32_e32 v11, v8, v15
	v_fmac_f32_e32 v14, 0xbee1c552, v44
	v_add_f32_e32 v6, v19, v29
	v_sub_f32_e32 v8, v11, v14
	v_fma_f32 v15, v7, s0, -v12
	v_add_f32_e32 v12, v14, v11
	v_sub_f32_e32 v14, v29, v19
	v_add_u32_e32 v29, 0x200, v48
	ds_read2_b32 v[68:69], v48 offset0:51 offset1:68
	ds_read2_b32 v[75:76], v29 offset0:127 offset1:144
	v_fma_f32 v7, v31, s1, -v41
	v_fmac_f32_e32 v64, 0xbee1c552, v13
	v_fmac_f32_e32 v38, 0xbee1c552, v13
	;; [unrolled: 1-line block ×3, first 2 shown]
	v_add_f32_e32 v13, v7, v40
	v_fmac_f32_e32 v42, 0xbee1c552, v44
	v_sub_f32_e32 v3, v61, v64
	v_add_f32_e32 v7, v15, v13
	v_sub_f32_e32 v11, v13, v15
	v_add_f32_e32 v15, v64, v61
	s_waitcnt vmcnt(2)
	v_mul_f32_e32 v19, v28, v49
	s_waitcnt vmcnt(1)
	v_mul_f32_e32 v31, v39, v55
	;; [unrolled: 2-line block ×3, first 2 shown]
	v_mul_f32_e32 v46, v26, v57
	v_mul_f32_e32 v61, v35, v51
	;; [unrolled: 1-line block ×3, first 2 shown]
	s_waitcnt lgkmcnt(1)
	v_fmac_f32_e32 v19, v69, v50
	v_fmac_f32_e32 v31, v67, v56
	;; [unrolled: 1-line block ×5, first 2 shown]
	s_waitcnt lgkmcnt(0)
	v_fmac_f32_e32 v64, v76, v54
	v_add_f32_e32 v4, v42, v34
	v_sub_f32_e32 v16, v34, v42
	v_sub_f32_e32 v34, v19, v31
	;; [unrolled: 1-line block ×6, first 2 shown]
	v_add_f32_e32 v23, v23, v66
	v_add_f32_e32 v78, v34, v23
	v_mul_f32_e32 v23, v39, v56
	v_mul_f32_e32 v73, 0x3f08b237, v29
	v_fma_f32 v67, v67, v55, -v23
	v_mul_f32_e32 v23, v28, v50
	v_mul_u32_u24_e32 v29, 6, v74
	v_fma_f32 v28, v69, v49, -v23
	v_mul_f32_e32 v23, v26, v58
	v_lshlrev_b32_e32 v29, 3, v29
	v_sub_f32_e32 v5, v36, v38
	v_add_f32_e32 v13, v38, v36
	v_fma_f32 v26, v72, v57, -v23
	v_mul_f32_e32 v23, v37, v60
	global_load_dwordx4 v[36:39], v29, s[12:13] offset:272
	global_load_dwordx4 v[40:43], v29, s[12:13] offset:304
	v_mul_f32_e32 v22, v22, v54
	global_load_dwordx4 v[54:57], v29, s[12:13] offset:288
	v_fma_f32 v53, v76, v53, -v22
	v_mul_f32_e32 v22, v35, v52
	v_fma_f32 v45, v45, v59, -v23
	v_fma_f32 v35, v63, v51, -v22
	v_add_f32_e32 v49, v28, v67
	v_add_f32_e32 v23, v45, v26
	;; [unrolled: 1-line block ×3, first 2 shown]
	v_sub_f32_e32 v22, v23, v51
	v_add_f32_e32 v29, v49, v51
	v_mul_f32_e32 v52, 0x3d64c772, v22
	v_add_f32_e32 v29, v23, v29
	v_sub_f32_e32 v50, v49, v23
	v_mov_b32_e32 v22, v52
	v_add_f32_e32 v23, v65, v29
	v_mul_f32_e32 v58, 0x3f4a47b2, v50
	v_fmac_f32_e32 v22, 0x3f4a47b2, v50
	v_mov_b32_e32 v50, v23
	v_fmac_f32_e32 v50, 0xbf955555, v29
	v_add_f32_e32 v59, v22, v50
	v_add_f32_e32 v22, v44, v46
	;; [unrolled: 1-line block ×3, first 2 shown]
	v_sub_f32_e32 v60, v22, v46
	v_add_f32_e32 v19, v19, v31
	v_mul_f32_e32 v60, 0x3d64c772, v60
	v_sub_f32_e32 v31, v19, v22
	v_mov_b32_e32 v61, v60
	v_mul_f32_e32 v44, 0x3f4a47b2, v31
	v_fmac_f32_e32 v61, 0x3f4a47b2, v31
	v_add_f32_e32 v31, v19, v46
	v_add_f32_e32 v31, v22, v31
	;; [unrolled: 1-line block ×3, first 2 shown]
	v_sub_f32_e32 v26, v45, v26
	v_sub_f32_e32 v35, v35, v53
	v_mov_b32_e32 v63, v22
	v_sub_f32_e32 v33, v28, v67
	v_sub_f32_e32 v28, v26, v35
	v_sub_f32_e32 v64, v66, v34
	v_mov_b32_e32 v77, v73
	v_fmac_f32_e32 v63, 0xbf955555, v31
	v_sub_f32_e32 v45, v33, v26
	v_mul_f32_e32 v53, 0x3f08b237, v28
	v_add_f32_e32 v26, v26, v35
	v_mul_f32_e32 v34, 0xbf5ff5aa, v64
	v_sub_f32_e32 v19, v46, v19
	v_sub_f32_e32 v35, v35, v33
	v_fmac_f32_e32 v77, 0xbeae86e6, v48
	v_add_f32_e32 v31, v61, v63
	v_mov_b32_e32 v61, v53
	v_add_f32_e32 v26, v33, v26
	v_fma_f32 v65, v48, s4, -v34
	v_sub_f32_e32 v48, v51, v49
	v_fma_f32 v44, v19, s5, -v44
	v_mul_f32_e32 v33, 0xbf5ff5aa, v35
	v_fmac_f32_e32 v61, 0xbeae86e6, v45
	v_fma_f32 v34, v48, s5, -v58
	v_add_f32_e32 v46, v44, v63
	v_fma_f32 v58, v45, s4, -v33
	v_fma_f32 v44, v48, s1, -v52
	;; [unrolled: 1-line block ×5, first 2 shown]
	v_fmac_f32_e32 v61, 0xbee1c552, v26
	v_fmac_f32_e32 v58, 0xbee1c552, v26
	v_add_f32_e32 v48, v44, v50
	v_fmac_f32_e32 v49, 0xbee1c552, v78
	v_fmac_f32_e32 v35, 0xbee1c552, v26
	v_add_f32_e32 v19, v19, v63
	v_sub_f32_e32 v28, v31, v61
	v_add_f32_e32 v51, v34, v50
	v_sub_f32_e32 v33, v46, v58
	v_sub_f32_e32 v45, v48, v49
	v_add_f32_e32 v44, v35, v19
	v_add_f32_e32 v49, v49, v48
	v_sub_f32_e32 v48, v19, v35
	v_add_f32_e32 v50, v58, v46
	v_add_f32_e32 v52, v61, v31
	s_waitcnt vmcnt(2)
	v_mul_f32_e32 v19, v27, v36
	v_mul_f32_e32 v60, v20, v38
	s_waitcnt vmcnt(1)
	v_mul_f32_e32 v61, v21, v40
	s_waitcnt vmcnt(0)
	v_mul_f32_e32 v35, v24, v56
	v_mul_f32_e32 v46, v25, v54
	;; [unrolled: 1-line block ×6, first 2 shown]
	v_fmac_f32_e32 v19, v68, v37
	v_fmac_f32_e32 v60, v32, v39
	v_mul_f32_e32 v27, v27, v37
	v_fma_f32 v37, v71, v54, -v25
	v_fma_f32 v24, v62, v56, -v24
	;; [unrolled: 1-line block ×4, first 2 shown]
	v_add_f32_e32 v25, v24, v37
	v_add_f32_e32 v38, v32, v21
	v_sub_f32_e32 v20, v25, v38
	v_mul_f32_e32 v26, v30, v42
	v_mul_f32_e32 v30, v30, v43
	;; [unrolled: 1-line block ×3, first 2 shown]
	ds_read_b32 v20, v47
	v_fma_f32 v30, v70, v42, -v30
	v_fma_f32 v27, v68, v36, -v27
	v_add_f32_e32 v36, v27, v30
	v_fmac_f32_e32 v26, v70, v43
	v_fmac_f32_e32 v35, v62, v57
	;; [unrolled: 1-line block ×4, first 2 shown]
	v_sub_f32_e32 v42, v36, v25
	v_mov_b32_e32 v40, v39
	v_add_f32_e32 v41, v36, v38
	v_sub_f32_e32 v31, v19, v26
	v_mul_f32_e32 v43, 0x3f4a47b2, v42
	v_fmac_f32_e32 v40, 0x3f4a47b2, v42
	v_add_f32_e32 v25, v25, v41
	v_add_f32_e32 v26, v19, v26
	;; [unrolled: 1-line block ×4, first 2 shown]
	v_sub_f32_e32 v58, v35, v46
	s_waitcnt lgkmcnt(0)
	v_add_f32_e32 v20, v20, v25
	v_sub_f32_e32 v46, v19, v42
	v_mov_b32_e32 v41, v20
	v_mul_f32_e32 v46, 0x3d64c772, v46
	v_fmac_f32_e32 v41, 0xbf955555, v25
	v_sub_f32_e32 v35, v26, v19
	v_mov_b32_e32 v54, v46
	v_add_f32_e32 v47, v40, v41
	v_mul_f32_e32 v40, 0x3f4a47b2, v35
	v_fmac_f32_e32 v54, 0x3f4a47b2, v35
	v_add_f32_e32 v35, v26, v42
	v_add_f32_e32 v35, v19, v35
	v_fmac_f32_e32 v77, 0xbee1c552, v78
	v_sub_f32_e32 v63, v60, v61
	v_add_f32_e32 v19, v0, v35
	v_add_f32_e32 v29, v77, v59
	v_sub_f32_e32 v53, v59, v77
	v_sub_f32_e32 v59, v31, v58
	;; [unrolled: 1-line block ×3, first 2 shown]
	v_add_f32_e32 v58, v58, v63
	v_mov_b32_e32 v0, v19
	v_sub_f32_e32 v30, v27, v30
	v_sub_f32_e32 v24, v24, v37
	;; [unrolled: 1-line block ×5, first 2 shown]
	v_fmac_f32_e32 v65, 0xbee1c552, v78
	v_mul_f32_e32 v64, 0x3f08b237, v64
	v_add_f32_e32 v58, v31, v58
	v_fmac_f32_e32 v0, 0xbf955555, v35
	v_sub_f32_e32 v35, v30, v24
	v_sub_f32_e32 v27, v24, v21
	v_add_f32_e32 v24, v24, v21
	v_sub_f32_e32 v31, v63, v31
	v_fma_f32 v26, v38, s5, -v40
	v_sub_f32_e32 v21, v21, v30
	v_add_f32_e32 v34, v65, v51
	v_sub_f32_e32 v51, v51, v65
	v_mov_b32_e32 v65, v64
	v_mul_f32_e32 v32, 0x3f08b237, v27
	v_mul_f32_e32 v27, 0xbf5ff5aa, v31
	v_add_f32_e32 v57, v26, v0
	v_mul_f32_e32 v26, 0xbf5ff5aa, v21
	v_fmac_f32_e32 v65, 0xbeae86e6, v59
	v_add_f32_e32 v37, v30, v24
	v_fma_f32 v56, v59, s4, -v27
	v_fma_f32 v59, v35, s4, -v26
	;; [unrolled: 1-line block ×3, first 2 shown]
	s_mov_b32 s4, 0xa0a0a0a1
	v_add_f32_e32 v39, v30, v41
	v_mul_hi_u32 v30, v74, s4
	v_mov_b32_e32 v55, v32
	v_fma_f32 v21, v21, s0, -v32
	v_fmac_f32_e32 v55, 0xbeae86e6, v35
	v_lshrrev_b32_e32 v30, 5, v30
	v_mul_lo_u32 v32, v30, 51
	v_fma_f32 v27, v36, s5, -v43
	v_fma_f32 v40, v31, s0, -v64
	;; [unrolled: 1-line block ×3, first 2 shown]
	v_sub_u32_e32 v32, v74, v32
	v_mad_u64_u32 v[35:36], s[0:1], s2, v32, 0
	v_add_f32_e32 v54, v54, v0
	v_fmac_f32_e32 v21, 0xbee1c552, v37
	v_add_f32_e32 v0, v30, v0
	v_fmac_f32_e32 v55, 0xbee1c552, v37
	v_fmac_f32_e32 v59, 0xbee1c552, v37
	v_add_f32_e32 v30, v21, v0
	v_sub_f32_e32 v37, v0, v21
	v_mov_b32_e32 v0, v36
	v_add_f32_e32 v43, v27, v41
	v_mad_u64_u32 v[41:42], s[0:1], s3, v32, v[0:1]
	v_mov_b32_e32 v0, s11
	v_add_co_u32_e32 v21, vcc, s10, v17
	v_add_u32_e32 v46, 51, v32
	v_mov_b32_e32 v36, v41
	v_addc_co_u32_e32 v41, vcc, v0, v18, vcc
	v_mad_u64_u32 v[17:18], s[0:1], s2, v46, 0
	v_lshlrev_b64 v[0:1], 3, v[1:2]
	v_fmac_f32_e32 v65, 0xbee1c552, v58
	v_fmac_f32_e32 v56, 0xbee1c552, v58
	;; [unrolled: 1-line block ×3, first 2 shown]
	v_add_f32_e32 v25, v65, v47
	v_add_f32_e32 v27, v56, v43
	v_sub_f32_e32 v31, v39, v40
	v_add_f32_e32 v38, v40, v39
	v_sub_f32_e32 v40, v43, v56
	v_sub_f32_e32 v43, v47, v65
	v_add_co_u32_e32 v47, vcc, v21, v0
	v_mov_b32_e32 v2, v18
	v_addc_co_u32_e32 v41, vcc, v41, v1, vcc
	v_lshlrev_b64 v[0:1], 3, v[35:36]
	v_mad_u64_u32 v[35:36], s[0:1], s3, v46, v[2:3]
	v_add_co_u32_e32 v0, vcc, v47, v0
	v_addc_co_u32_e32 v1, vcc, v41, v1, vcc
	global_store_dwordx2 v[0:1], v[19:20], off
	v_mov_b32_e32 v18, v35
	v_add_u32_e32 v19, 0x66, v32
	v_lshlrev_b64 v[0:1], 3, v[17:18]
	v_mad_u64_u32 v[17:18], s[0:1], s2, v19, 0
	v_add_u32_e32 v21, 0x99, v32
	v_add_co_u32_e32 v0, vcc, v47, v0
	v_mov_b32_e32 v2, v18
	v_mad_u64_u32 v[18:19], s[0:1], s3, v19, v[2:3]
	v_mad_u64_u32 v[19:20], s[0:1], s2, v21, 0
	v_add_f32_e32 v42, v55, v54
	v_addc_co_u32_e32 v1, vcc, v41, v1, vcc
	v_mov_b32_e32 v2, v20
	global_store_dwordx2 v[0:1], v[42:43], off
	v_lshlrev_b64 v[0:1], 3, v[17:18]
	v_mad_u64_u32 v[17:18], s[0:1], s3, v21, v[2:3]
	v_add_co_u32_e32 v0, vcc, v47, v0
	v_add_f32_e32 v39, v59, v57
	v_addc_co_u32_e32 v1, vcc, v41, v1, vcc
	v_mov_b32_e32 v20, v17
	global_store_dwordx2 v[0:1], v[39:40], off
	v_lshlrev_b64 v[0:1], 3, v[19:20]
	v_add_u32_e32 v19, 0xcc, v32
	v_mad_u64_u32 v[17:18], s[0:1], s2, v19, 0
	v_add_u32_e32 v21, 0xff, v32
	v_add_co_u32_e32 v0, vcc, v47, v0
	v_mov_b32_e32 v2, v18
	v_mad_u64_u32 v[18:19], s[0:1], s3, v19, v[2:3]
	v_mad_u64_u32 v[19:20], s[0:1], s2, v21, 0
	v_addc_co_u32_e32 v1, vcc, v41, v1, vcc
	v_mov_b32_e32 v2, v20
	global_store_dwordx2 v[0:1], v[37:38], off
	v_lshlrev_b64 v[0:1], 3, v[17:18]
	v_mad_u64_u32 v[17:18], s[0:1], s3, v21, v[2:3]
	v_add_co_u32_e32 v0, vcc, v47, v0
	v_addc_co_u32_e32 v1, vcc, v41, v1, vcc
	v_mov_b32_e32 v20, v17
	global_store_dwordx2 v[0:1], v[30:31], off
	v_lshlrev_b64 v[0:1], 3, v[19:20]
	v_add_u32_e32 v19, 17, v74
	v_mul_hi_u32 v20, v19, s4
	v_add_u32_e32 v2, 0x132, v32
	v_mad_u64_u32 v[17:18], s[0:1], s2, v2, 0
	v_lshrrev_b32_e32 v20, 5, v20
	v_add_co_u32_e32 v0, vcc, v47, v0
	v_mul_lo_u32 v21, v20, 51
	v_sub_f32_e32 v26, v57, v59
	v_addc_co_u32_e32 v1, vcc, v41, v1, vcc
	global_store_dwordx2 v[0:1], v[26:27], off
	v_mov_b32_e32 v0, v18
	v_mad_u64_u32 v[0:1], s[0:1], s3, v2, v[0:1]
	v_sub_u32_e32 v1, v19, v21
	s_movk_i32 s5, 0x165
	v_mad_u64_u32 v[1:2], s[0:1], v20, s5, v[1:2]
	v_mov_b32_e32 v18, v0
	v_lshlrev_b64 v[17:18], 3, v[17:18]
	v_mad_u64_u32 v[19:20], s[0:1], s2, v1, 0
	v_add_u32_e32 v2, 51, v1
	v_mad_u64_u32 v[26:27], s[0:1], s2, v2, 0
	v_mov_b32_e32 v0, v20
	v_mad_u64_u32 v[20:21], s[0:1], s3, v1, v[0:1]
	v_add_co_u32_e32 v17, vcc, v47, v17
	v_sub_f32_e32 v24, v54, v55
	v_addc_co_u32_e32 v18, vcc, v41, v18, vcc
	v_mov_b32_e32 v0, v27
	global_store_dwordx2 v[17:18], v[24:25], off
	v_lshlrev_b64 v[17:18], 3, v[19:20]
	v_mad_u64_u32 v[19:20], s[0:1], s3, v2, v[0:1]
	v_add_u32_e32 v2, 0x66, v1
	v_add_co_u32_e32 v17, vcc, v47, v17
	v_mov_b32_e32 v27, v19
	v_mad_u64_u32 v[19:20], s[0:1], s2, v2, 0
	v_addc_co_u32_e32 v18, vcc, v41, v18, vcc
	v_mov_b32_e32 v0, v20
	v_mad_u64_u32 v[20:21], s[0:1], s3, v2, v[0:1]
	v_add_u32_e32 v2, 0x99, v1
	global_store_dwordx2 v[17:18], v[22:23], off
	v_mad_u64_u32 v[21:22], s[0:1], s2, v2, 0
	v_lshlrev_b64 v[17:18], 3, v[26:27]
	v_add_co_u32_e32 v17, vcc, v47, v17
	v_addc_co_u32_e32 v18, vcc, v41, v18, vcc
	v_mov_b32_e32 v0, v22
	global_store_dwordx2 v[17:18], v[52:53], off
	v_lshlrev_b64 v[17:18], 3, v[19:20]
	v_mad_u64_u32 v[19:20], s[0:1], s3, v2, v[0:1]
	v_add_u32_e32 v2, 0xcc, v1
	v_add_co_u32_e32 v17, vcc, v47, v17
	v_mov_b32_e32 v22, v19
	v_mad_u64_u32 v[19:20], s[0:1], s2, v2, 0
	v_addc_co_u32_e32 v18, vcc, v41, v18, vcc
	v_mov_b32_e32 v0, v20
	global_store_dwordx2 v[17:18], v[50:51], off
	v_lshlrev_b64 v[17:18], 3, v[21:22]
	v_mad_u64_u32 v[20:21], s[0:1], s3, v2, v[0:1]
	v_add_u32_e32 v2, 0xff, v1
	v_mad_u64_u32 v[21:22], s[0:1], s2, v2, 0
	v_add_co_u32_e32 v17, vcc, v47, v17
	v_addc_co_u32_e32 v18, vcc, v41, v18, vcc
	v_mov_b32_e32 v0, v22
	global_store_dwordx2 v[17:18], v[48:49], off
	v_lshlrev_b64 v[17:18], 3, v[19:20]
	v_mad_u64_u32 v[19:20], s[0:1], s3, v2, v[0:1]
	v_add_u32_e32 v2, 34, v74
	v_add_co_u32_e32 v17, vcc, v47, v17
	v_mov_b32_e32 v22, v19
	v_mul_hi_u32 v19, v2, s4
	v_addc_co_u32_e32 v18, vcc, v41, v18, vcc
	global_store_dwordx2 v[17:18], v[44:45], off
	v_lshrrev_b32_e32 v19, 5, v19
	v_mul_lo_u32 v20, v19, 51
	v_lshlrev_b64 v[17:18], 3, v[21:22]
	v_add_u32_e32 v21, 0x132, v1
	v_mad_u64_u32 v[0:1], s[0:1], s2, v21, 0
	v_sub_u32_e32 v2, v2, v20
	v_mad_u64_u32 v[19:20], s[0:1], v19, s5, v[2:3]
	v_mad_u64_u32 v[1:2], s[0:1], s3, v21, v[1:2]
	;; [unrolled: 1-line block ×3, first 2 shown]
	v_add_co_u32_e32 v17, vcc, v47, v17
	v_addc_co_u32_e32 v18, vcc, v41, v18, vcc
	v_mov_b32_e32 v2, v21
	global_store_dwordx2 v[17:18], v[33:34], off
	v_mad_u64_u32 v[17:18], s[0:1], s3, v19, v[2:3]
	v_lshlrev_b64 v[0:1], 3, v[0:1]
	v_add_u32_e32 v23, 0x66, v19
	v_add_co_u32_e32 v0, vcc, v47, v0
	v_addc_co_u32_e32 v1, vcc, v41, v1, vcc
	v_mov_b32_e32 v21, v17
	global_store_dwordx2 v[0:1], v[28:29], off
	v_lshlrev_b64 v[0:1], 3, v[20:21]
	v_add_u32_e32 v20, 51, v19
	v_mad_u64_u32 v[17:18], s[0:1], s2, v20, 0
	v_add_co_u32_e32 v0, vcc, v47, v0
	v_mov_b32_e32 v2, v18
	v_mad_u64_u32 v[20:21], s[0:1], s3, v20, v[2:3]
	v_mad_u64_u32 v[21:22], s[0:1], s2, v23, 0
	v_addc_co_u32_e32 v1, vcc, v41, v1, vcc
	v_mov_b32_e32 v18, v20
	global_store_dwordx2 v[0:1], v[9:10], off
	v_lshlrev_b64 v[0:1], 3, v[17:18]
	v_mov_b32_e32 v2, v22
	v_mad_u64_u32 v[9:10], s[0:1], s3, v23, v[2:3]
	v_add_co_u32_e32 v0, vcc, v47, v0
	v_addc_co_u32_e32 v1, vcc, v41, v1, vcc
	global_store_dwordx2 v[0:1], v[15:16], off
	v_add_u32_e32 v15, 0x99, v19
	v_mov_b32_e32 v22, v9
	v_mad_u64_u32 v[9:10], s[0:1], s2, v15, 0
	v_add_u32_e32 v18, 0xcc, v19
	v_lshlrev_b64 v[0:1], 3, v[21:22]
	v_mov_b32_e32 v2, v10
	v_mad_u64_u32 v[15:16], s[0:1], s3, v15, v[2:3]
	v_mad_u64_u32 v[16:17], s[0:1], s2, v18, 0
	v_add_co_u32_e32 v0, vcc, v47, v0
	v_addc_co_u32_e32 v1, vcc, v41, v1, vcc
	v_mov_b32_e32 v10, v15
	global_store_dwordx2 v[0:1], v[13:14], off
	v_lshlrev_b64 v[0:1], 3, v[9:10]
	v_mov_b32_e32 v2, v17
	v_mad_u64_u32 v[9:10], s[0:1], s3, v18, v[2:3]
	v_add_co_u32_e32 v0, vcc, v47, v0
	v_addc_co_u32_e32 v1, vcc, v41, v1, vcc
	global_store_dwordx2 v[0:1], v[11:12], off
	v_add_u32_e32 v11, 0xff, v19
	v_mov_b32_e32 v17, v9
	v_mad_u64_u32 v[9:10], s[0:1], s2, v11, 0
	v_add_u32_e32 v13, 0x132, v19
	v_lshlrev_b64 v[0:1], 3, v[16:17]
	v_mov_b32_e32 v2, v10
	v_mad_u64_u32 v[10:11], s[0:1], s3, v11, v[2:3]
	v_mad_u64_u32 v[11:12], s[0:1], s2, v13, 0
	v_add_co_u32_e32 v0, vcc, v47, v0
	v_addc_co_u32_e32 v1, vcc, v41, v1, vcc
	v_mov_b32_e32 v2, v12
	global_store_dwordx2 v[0:1], v[7:8], off
	v_mad_u64_u32 v[7:8], s[0:1], s3, v13, v[2:3]
	v_lshlrev_b64 v[0:1], 3, v[9:10]
	v_add_co_u32_e32 v0, vcc, v47, v0
	v_addc_co_u32_e32 v1, vcc, v41, v1, vcc
	v_mov_b32_e32 v12, v7
	global_store_dwordx2 v[0:1], v[5:6], off
	v_lshlrev_b64 v[0:1], 3, v[11:12]
	v_add_co_u32_e32 v0, vcc, v47, v0
	v_addc_co_u32_e32 v1, vcc, v41, v1, vcc
	global_store_dwordx2 v[0:1], v[3:4], off
.LBB0_20:
	s_endpgm
	.section	.rodata,"a",@progbits
	.p2align	6, 0x0
	.amdhsa_kernel fft_rtc_back_len357_factors_17_3_7_wgs_187_tpt_17_halfLds_sp_op_CI_CI_sbrr_dirReg
		.amdhsa_group_segment_fixed_size 0
		.amdhsa_private_segment_fixed_size 0
		.amdhsa_kernarg_size 104
		.amdhsa_user_sgpr_count 6
		.amdhsa_user_sgpr_private_segment_buffer 1
		.amdhsa_user_sgpr_dispatch_ptr 0
		.amdhsa_user_sgpr_queue_ptr 0
		.amdhsa_user_sgpr_kernarg_segment_ptr 1
		.amdhsa_user_sgpr_dispatch_id 0
		.amdhsa_user_sgpr_flat_scratch_init 0
		.amdhsa_user_sgpr_private_segment_size 0
		.amdhsa_uses_dynamic_stack 0
		.amdhsa_system_sgpr_private_segment_wavefront_offset 0
		.amdhsa_system_sgpr_workgroup_id_x 1
		.amdhsa_system_sgpr_workgroup_id_y 0
		.amdhsa_system_sgpr_workgroup_id_z 0
		.amdhsa_system_sgpr_workgroup_info 0
		.amdhsa_system_vgpr_workitem_id 0
		.amdhsa_next_free_vgpr 113
		.amdhsa_next_free_sgpr 32
		.amdhsa_reserve_vcc 1
		.amdhsa_reserve_flat_scratch 0
		.amdhsa_float_round_mode_32 0
		.amdhsa_float_round_mode_16_64 0
		.amdhsa_float_denorm_mode_32 3
		.amdhsa_float_denorm_mode_16_64 3
		.amdhsa_dx10_clamp 1
		.amdhsa_ieee_mode 1
		.amdhsa_fp16_overflow 0
		.amdhsa_exception_fp_ieee_invalid_op 0
		.amdhsa_exception_fp_denorm_src 0
		.amdhsa_exception_fp_ieee_div_zero 0
		.amdhsa_exception_fp_ieee_overflow 0
		.amdhsa_exception_fp_ieee_underflow 0
		.amdhsa_exception_fp_ieee_inexact 0
		.amdhsa_exception_int_div_zero 0
	.end_amdhsa_kernel
	.text
.Lfunc_end0:
	.size	fft_rtc_back_len357_factors_17_3_7_wgs_187_tpt_17_halfLds_sp_op_CI_CI_sbrr_dirReg, .Lfunc_end0-fft_rtc_back_len357_factors_17_3_7_wgs_187_tpt_17_halfLds_sp_op_CI_CI_sbrr_dirReg
                                        ; -- End function
	.section	.AMDGPU.csdata,"",@progbits
; Kernel info:
; codeLenInByte = 18368
; NumSgprs: 36
; NumVgprs: 113
; ScratchSize: 0
; MemoryBound: 0
; FloatMode: 240
; IeeeMode: 1
; LDSByteSize: 0 bytes/workgroup (compile time only)
; SGPRBlocks: 4
; VGPRBlocks: 28
; NumSGPRsForWavesPerEU: 36
; NumVGPRsForWavesPerEU: 113
; Occupancy: 2
; WaveLimiterHint : 1
; COMPUTE_PGM_RSRC2:SCRATCH_EN: 0
; COMPUTE_PGM_RSRC2:USER_SGPR: 6
; COMPUTE_PGM_RSRC2:TRAP_HANDLER: 0
; COMPUTE_PGM_RSRC2:TGID_X_EN: 1
; COMPUTE_PGM_RSRC2:TGID_Y_EN: 0
; COMPUTE_PGM_RSRC2:TGID_Z_EN: 0
; COMPUTE_PGM_RSRC2:TIDIG_COMP_CNT: 0
	.type	__hip_cuid_478c079cbbfaa919,@object ; @__hip_cuid_478c079cbbfaa919
	.section	.bss,"aw",@nobits
	.globl	__hip_cuid_478c079cbbfaa919
__hip_cuid_478c079cbbfaa919:
	.byte	0                               ; 0x0
	.size	__hip_cuid_478c079cbbfaa919, 1

	.ident	"AMD clang version 19.0.0git (https://github.com/RadeonOpenCompute/llvm-project roc-6.4.0 25133 c7fe45cf4b819c5991fe208aaa96edf142730f1d)"
	.section	".note.GNU-stack","",@progbits
	.addrsig
	.addrsig_sym __hip_cuid_478c079cbbfaa919
	.amdgpu_metadata
---
amdhsa.kernels:
  - .args:
      - .actual_access:  read_only
        .address_space:  global
        .offset:         0
        .size:           8
        .value_kind:     global_buffer
      - .offset:         8
        .size:           8
        .value_kind:     by_value
      - .actual_access:  read_only
        .address_space:  global
        .offset:         16
        .size:           8
        .value_kind:     global_buffer
      - .actual_access:  read_only
        .address_space:  global
        .offset:         24
        .size:           8
        .value_kind:     global_buffer
      - .actual_access:  read_only
        .address_space:  global
        .offset:         32
        .size:           8
        .value_kind:     global_buffer
      - .offset:         40
        .size:           8
        .value_kind:     by_value
      - .actual_access:  read_only
        .address_space:  global
        .offset:         48
        .size:           8
        .value_kind:     global_buffer
      - .actual_access:  read_only
        .address_space:  global
        .offset:         56
        .size:           8
        .value_kind:     global_buffer
      - .offset:         64
        .size:           4
        .value_kind:     by_value
      - .actual_access:  read_only
        .address_space:  global
        .offset:         72
        .size:           8
        .value_kind:     global_buffer
      - .actual_access:  read_only
        .address_space:  global
        .offset:         80
        .size:           8
        .value_kind:     global_buffer
      - .actual_access:  read_only
        .address_space:  global
        .offset:         88
        .size:           8
        .value_kind:     global_buffer
      - .actual_access:  write_only
        .address_space:  global
        .offset:         96
        .size:           8
        .value_kind:     global_buffer
    .group_segment_fixed_size: 0
    .kernarg_segment_align: 8
    .kernarg_segment_size: 104
    .language:       OpenCL C
    .language_version:
      - 2
      - 0
    .max_flat_workgroup_size: 187
    .name:           fft_rtc_back_len357_factors_17_3_7_wgs_187_tpt_17_halfLds_sp_op_CI_CI_sbrr_dirReg
    .private_segment_fixed_size: 0
    .sgpr_count:     36
    .sgpr_spill_count: 0
    .symbol:         fft_rtc_back_len357_factors_17_3_7_wgs_187_tpt_17_halfLds_sp_op_CI_CI_sbrr_dirReg.kd
    .uniform_work_group_size: 1
    .uses_dynamic_stack: false
    .vgpr_count:     113
    .vgpr_spill_count: 0
    .wavefront_size: 64
amdhsa.target:   amdgcn-amd-amdhsa--gfx906
amdhsa.version:
  - 1
  - 2
...

	.end_amdgpu_metadata
